;; amdgpu-corpus repo=ROCm/rocFFT kind=compiled arch=gfx1201 opt=O3
	.text
	.amdgcn_target "amdgcn-amd-amdhsa--gfx1201"
	.amdhsa_code_object_version 6
	.protected	fft_rtc_back_len544_factors_17_2_16_wgs_102_tpt_34_halfLds_dp_op_CI_CI_unitstride_sbrr_C2R_dirReg ; -- Begin function fft_rtc_back_len544_factors_17_2_16_wgs_102_tpt_34_halfLds_dp_op_CI_CI_unitstride_sbrr_C2R_dirReg
	.globl	fft_rtc_back_len544_factors_17_2_16_wgs_102_tpt_34_halfLds_dp_op_CI_CI_unitstride_sbrr_C2R_dirReg
	.p2align	8
	.type	fft_rtc_back_len544_factors_17_2_16_wgs_102_tpt_34_halfLds_dp_op_CI_CI_unitstride_sbrr_C2R_dirReg,@function
fft_rtc_back_len544_factors_17_2_16_wgs_102_tpt_34_halfLds_dp_op_CI_CI_unitstride_sbrr_C2R_dirReg: ; @fft_rtc_back_len544_factors_17_2_16_wgs_102_tpt_34_halfLds_dp_op_CI_CI_unitstride_sbrr_C2R_dirReg
; %bb.0:
	s_load_b128 s[8:11], s[0:1], 0x0
	v_mul_u32_u24_e32 v1, 0x788, v0
	s_clause 0x1
	s_load_b128 s[4:7], s[0:1], 0x58
	s_load_b128 s[12:15], s[0:1], 0x18
	v_mov_b32_e32 v5, 0
	v_lshrrev_b32_e32 v3, 16, v1
	v_mov_b32_e32 v1, 0
	v_mov_b32_e32 v2, 0
	s_delay_alu instid0(VALU_DEP_3) | instskip(NEXT) | instid1(VALU_DEP_2)
	v_mad_co_u64_u32 v[3:4], null, ttmp9, 3, v[3:4]
	v_dual_mov_b32 v4, v5 :: v_dual_mov_b32 v69, v2
	s_delay_alu instid0(VALU_DEP_1) | instskip(NEXT) | instid1(VALU_DEP_3)
	v_dual_mov_b32 v68, v1 :: v_dual_mov_b32 v73, v4
	v_mov_b32_e32 v72, v3
	s_wait_kmcnt 0x0
	v_cmp_lt_u64_e64 s2, s[10:11], 2
	s_delay_alu instid0(VALU_DEP_1)
	s_and_b32 vcc_lo, exec_lo, s2
	s_cbranch_vccnz .LBB0_8
; %bb.1:
	s_load_b64 s[2:3], s[0:1], 0x10
	v_dual_mov_b32 v1, 0 :: v_dual_mov_b32 v8, v4
	v_dual_mov_b32 v2, 0 :: v_dual_mov_b32 v7, v3
	s_add_nc_u64 s[16:17], s[14:15], 8
	s_add_nc_u64 s[18:19], s[12:13], 8
	s_mov_b64 s[20:21], 1
	s_delay_alu instid0(VALU_DEP_1)
	v_dual_mov_b32 v69, v2 :: v_dual_mov_b32 v68, v1
	s_wait_kmcnt 0x0
	s_add_nc_u64 s[22:23], s[2:3], 8
	s_mov_b32 s3, 0
.LBB0_2:                                ; =>This Inner Loop Header: Depth=1
	s_load_b64 s[24:25], s[22:23], 0x0
                                        ; implicit-def: $vgpr72_vgpr73
	s_mov_b32 s2, exec_lo
	s_wait_kmcnt 0x0
	v_or_b32_e32 v6, s25, v8
	s_delay_alu instid0(VALU_DEP_1)
	v_cmpx_ne_u64_e32 0, v[5:6]
	s_wait_alu 0xfffe
	s_xor_b32 s26, exec_lo, s2
	s_cbranch_execz .LBB0_4
; %bb.3:                                ;   in Loop: Header=BB0_2 Depth=1
	s_cvt_f32_u32 s2, s24
	s_cvt_f32_u32 s27, s25
	s_sub_nc_u64 s[30:31], 0, s[24:25]
	s_wait_alu 0xfffe
	s_delay_alu instid0(SALU_CYCLE_1) | instskip(SKIP_1) | instid1(SALU_CYCLE_2)
	s_fmamk_f32 s2, s27, 0x4f800000, s2
	s_wait_alu 0xfffe
	v_s_rcp_f32 s2, s2
	s_delay_alu instid0(TRANS32_DEP_1) | instskip(SKIP_1) | instid1(SALU_CYCLE_2)
	s_mul_f32 s2, s2, 0x5f7ffffc
	s_wait_alu 0xfffe
	s_mul_f32 s27, s2, 0x2f800000
	s_wait_alu 0xfffe
	s_delay_alu instid0(SALU_CYCLE_2) | instskip(SKIP_1) | instid1(SALU_CYCLE_2)
	s_trunc_f32 s27, s27
	s_wait_alu 0xfffe
	s_fmamk_f32 s2, s27, 0xcf800000, s2
	s_cvt_u32_f32 s29, s27
	s_wait_alu 0xfffe
	s_delay_alu instid0(SALU_CYCLE_1) | instskip(SKIP_1) | instid1(SALU_CYCLE_2)
	s_cvt_u32_f32 s28, s2
	s_wait_alu 0xfffe
	s_mul_u64 s[34:35], s[30:31], s[28:29]
	s_wait_alu 0xfffe
	s_mul_hi_u32 s37, s28, s35
	s_mul_i32 s36, s28, s35
	s_mul_hi_u32 s2, s28, s34
	s_mul_i32 s33, s29, s34
	s_wait_alu 0xfffe
	s_add_nc_u64 s[36:37], s[2:3], s[36:37]
	s_mul_hi_u32 s27, s29, s34
	s_mul_hi_u32 s38, s29, s35
	s_add_co_u32 s2, s36, s33
	s_wait_alu 0xfffe
	s_add_co_ci_u32 s2, s37, s27
	s_mul_i32 s34, s29, s35
	s_add_co_ci_u32 s35, s38, 0
	s_wait_alu 0xfffe
	s_add_nc_u64 s[34:35], s[2:3], s[34:35]
	s_wait_alu 0xfffe
	v_add_co_u32 v4, s2, s28, s34
	s_delay_alu instid0(VALU_DEP_1) | instskip(SKIP_1) | instid1(VALU_DEP_1)
	s_cmp_lg_u32 s2, 0
	s_add_co_ci_u32 s29, s29, s35
	v_readfirstlane_b32 s28, v4
	s_wait_alu 0xfffe
	s_delay_alu instid0(VALU_DEP_1)
	s_mul_u64 s[30:31], s[30:31], s[28:29]
	s_wait_alu 0xfffe
	s_mul_hi_u32 s35, s28, s31
	s_mul_i32 s34, s28, s31
	s_mul_hi_u32 s2, s28, s30
	s_mul_i32 s33, s29, s30
	s_wait_alu 0xfffe
	s_add_nc_u64 s[34:35], s[2:3], s[34:35]
	s_mul_hi_u32 s27, s29, s30
	s_mul_hi_u32 s28, s29, s31
	s_wait_alu 0xfffe
	s_add_co_u32 s2, s34, s33
	s_add_co_ci_u32 s2, s35, s27
	s_mul_i32 s30, s29, s31
	s_add_co_ci_u32 s31, s28, 0
	s_wait_alu 0xfffe
	s_add_nc_u64 s[30:31], s[2:3], s[30:31]
	s_wait_alu 0xfffe
	v_add_co_u32 v4, s2, v4, s30
	s_delay_alu instid0(VALU_DEP_1) | instskip(SKIP_1) | instid1(VALU_DEP_1)
	s_cmp_lg_u32 s2, 0
	s_add_co_ci_u32 s2, s29, s31
	v_mul_hi_u32 v6, v7, v4
	s_wait_alu 0xfffe
	v_mad_co_u64_u32 v[9:10], null, v7, s2, 0
	v_mad_co_u64_u32 v[11:12], null, v8, v4, 0
	;; [unrolled: 1-line block ×3, first 2 shown]
	s_delay_alu instid0(VALU_DEP_3) | instskip(SKIP_1) | instid1(VALU_DEP_4)
	v_add_co_u32 v4, vcc_lo, v6, v9
	s_wait_alu 0xfffd
	v_add_co_ci_u32_e32 v6, vcc_lo, 0, v10, vcc_lo
	s_delay_alu instid0(VALU_DEP_2) | instskip(SKIP_1) | instid1(VALU_DEP_2)
	v_add_co_u32 v4, vcc_lo, v4, v11
	s_wait_alu 0xfffd
	v_add_co_ci_u32_e32 v4, vcc_lo, v6, v12, vcc_lo
	s_wait_alu 0xfffd
	v_add_co_ci_u32_e32 v6, vcc_lo, 0, v14, vcc_lo
	s_delay_alu instid0(VALU_DEP_2) | instskip(SKIP_1) | instid1(VALU_DEP_2)
	v_add_co_u32 v4, vcc_lo, v4, v13
	s_wait_alu 0xfffd
	v_add_co_ci_u32_e32 v6, vcc_lo, 0, v6, vcc_lo
	s_delay_alu instid0(VALU_DEP_2) | instskip(SKIP_1) | instid1(VALU_DEP_3)
	v_mul_lo_u32 v11, s25, v4
	v_mad_co_u64_u32 v[9:10], null, s24, v4, 0
	v_mul_lo_u32 v12, s24, v6
	s_delay_alu instid0(VALU_DEP_2) | instskip(NEXT) | instid1(VALU_DEP_2)
	v_sub_co_u32 v9, vcc_lo, v7, v9
	v_add3_u32 v10, v10, v12, v11
	s_delay_alu instid0(VALU_DEP_1) | instskip(SKIP_1) | instid1(VALU_DEP_1)
	v_sub_nc_u32_e32 v11, v8, v10
	s_wait_alu 0xfffd
	v_subrev_co_ci_u32_e64 v11, s2, s25, v11, vcc_lo
	v_add_co_u32 v12, s2, v4, 2
	s_wait_alu 0xf1ff
	v_add_co_ci_u32_e64 v13, s2, 0, v6, s2
	v_sub_co_u32 v14, s2, v9, s24
	v_sub_co_ci_u32_e32 v10, vcc_lo, v8, v10, vcc_lo
	s_wait_alu 0xf1ff
	v_subrev_co_ci_u32_e64 v11, s2, 0, v11, s2
	s_delay_alu instid0(VALU_DEP_3) | instskip(NEXT) | instid1(VALU_DEP_3)
	v_cmp_le_u32_e32 vcc_lo, s24, v14
	v_cmp_eq_u32_e64 s2, s25, v10
	s_wait_alu 0xfffd
	v_cndmask_b32_e64 v14, 0, -1, vcc_lo
	v_cmp_le_u32_e32 vcc_lo, s25, v11
	s_wait_alu 0xfffd
	v_cndmask_b32_e64 v15, 0, -1, vcc_lo
	v_cmp_le_u32_e32 vcc_lo, s24, v9
	;; [unrolled: 3-line block ×3, first 2 shown]
	s_wait_alu 0xfffd
	v_cndmask_b32_e64 v16, 0, -1, vcc_lo
	v_cmp_eq_u32_e32 vcc_lo, s25, v11
	s_wait_alu 0xf1ff
	s_delay_alu instid0(VALU_DEP_2)
	v_cndmask_b32_e64 v9, v16, v9, s2
	s_wait_alu 0xfffd
	v_cndmask_b32_e32 v11, v15, v14, vcc_lo
	v_add_co_u32 v14, vcc_lo, v4, 1
	s_wait_alu 0xfffd
	v_add_co_ci_u32_e32 v15, vcc_lo, 0, v6, vcc_lo
	s_delay_alu instid0(VALU_DEP_3) | instskip(SKIP_1) | instid1(VALU_DEP_2)
	v_cmp_ne_u32_e32 vcc_lo, 0, v11
	s_wait_alu 0xfffd
	v_dual_cndmask_b32 v10, v15, v13 :: v_dual_cndmask_b32 v11, v14, v12
	v_cmp_ne_u32_e32 vcc_lo, 0, v9
	s_wait_alu 0xfffd
	s_delay_alu instid0(VALU_DEP_2)
	v_dual_cndmask_b32 v73, v6, v10 :: v_dual_cndmask_b32 v72, v4, v11
.LBB0_4:                                ;   in Loop: Header=BB0_2 Depth=1
	s_wait_alu 0xfffe
	s_and_not1_saveexec_b32 s2, s26
	s_cbranch_execz .LBB0_6
; %bb.5:                                ;   in Loop: Header=BB0_2 Depth=1
	v_cvt_f32_u32_e32 v4, s24
	s_sub_co_i32 s26, 0, s24
	v_mov_b32_e32 v73, v5
	s_delay_alu instid0(VALU_DEP_2) | instskip(NEXT) | instid1(TRANS32_DEP_1)
	v_rcp_iflag_f32_e32 v4, v4
	v_mul_f32_e32 v4, 0x4f7ffffe, v4
	s_delay_alu instid0(VALU_DEP_1) | instskip(SKIP_1) | instid1(VALU_DEP_1)
	v_cvt_u32_f32_e32 v4, v4
	s_wait_alu 0xfffe
	v_mul_lo_u32 v6, s26, v4
	s_delay_alu instid0(VALU_DEP_1) | instskip(NEXT) | instid1(VALU_DEP_1)
	v_mul_hi_u32 v6, v4, v6
	v_add_nc_u32_e32 v4, v4, v6
	s_delay_alu instid0(VALU_DEP_1) | instskip(NEXT) | instid1(VALU_DEP_1)
	v_mul_hi_u32 v4, v7, v4
	v_mul_lo_u32 v6, v4, s24
	s_delay_alu instid0(VALU_DEP_1) | instskip(NEXT) | instid1(VALU_DEP_1)
	v_sub_nc_u32_e32 v6, v7, v6
	v_subrev_nc_u32_e32 v10, s24, v6
	v_cmp_le_u32_e32 vcc_lo, s24, v6
	s_wait_alu 0xfffd
	s_delay_alu instid0(VALU_DEP_2) | instskip(NEXT) | instid1(VALU_DEP_1)
	v_dual_cndmask_b32 v6, v6, v10 :: v_dual_add_nc_u32 v9, 1, v4
	v_cndmask_b32_e32 v4, v4, v9, vcc_lo
	s_delay_alu instid0(VALU_DEP_2) | instskip(NEXT) | instid1(VALU_DEP_2)
	v_cmp_le_u32_e32 vcc_lo, s24, v6
	v_add_nc_u32_e32 v9, 1, v4
	s_wait_alu 0xfffd
	s_delay_alu instid0(VALU_DEP_1)
	v_cndmask_b32_e32 v72, v4, v9, vcc_lo
.LBB0_6:                                ;   in Loop: Header=BB0_2 Depth=1
	s_wait_alu 0xfffe
	s_or_b32 exec_lo, exec_lo, s2
	v_mul_lo_u32 v4, v73, s24
	s_delay_alu instid0(VALU_DEP_2)
	v_mul_lo_u32 v6, v72, s25
	s_load_b64 s[26:27], s[18:19], 0x0
	v_mad_co_u64_u32 v[9:10], null, v72, s24, 0
	s_load_b64 s[24:25], s[16:17], 0x0
	s_add_nc_u64 s[20:21], s[20:21], 1
	s_add_nc_u64 s[16:17], s[16:17], 8
	s_wait_alu 0xfffe
	v_cmp_ge_u64_e64 s2, s[20:21], s[10:11]
	s_add_nc_u64 s[18:19], s[18:19], 8
	s_add_nc_u64 s[22:23], s[22:23], 8
	v_add3_u32 v4, v10, v6, v4
	v_sub_co_u32 v6, vcc_lo, v7, v9
	s_wait_alu 0xfffd
	s_delay_alu instid0(VALU_DEP_2) | instskip(SKIP_2) | instid1(VALU_DEP_1)
	v_sub_co_ci_u32_e32 v4, vcc_lo, v8, v4, vcc_lo
	s_and_b32 vcc_lo, exec_lo, s2
	s_wait_kmcnt 0x0
	v_mul_lo_u32 v7, s26, v4
	v_mul_lo_u32 v8, s27, v6
	v_mad_co_u64_u32 v[1:2], null, s26, v6, v[1:2]
	v_mul_lo_u32 v4, s24, v4
	v_mul_lo_u32 v9, s25, v6
	v_mad_co_u64_u32 v[68:69], null, s24, v6, v[68:69]
	s_delay_alu instid0(VALU_DEP_4) | instskip(NEXT) | instid1(VALU_DEP_2)
	v_add3_u32 v2, v8, v2, v7
	v_add3_u32 v69, v9, v69, v4
	s_wait_alu 0xfffe
	s_cbranch_vccnz .LBB0_8
; %bb.7:                                ;   in Loop: Header=BB0_2 Depth=1
	v_dual_mov_b32 v7, v72 :: v_dual_mov_b32 v8, v73
	s_branch .LBB0_2
.LBB0_8:
	s_load_b64 s[0:1], s[0:1], 0x28
	v_mul_hi_u32 v4, 0xaaaaaaab, v3
	s_lshl_b64 s[10:11], s[10:11], 3
                                        ; implicit-def: $vgpr70
	s_wait_alu 0xfffe
	s_add_nc_u64 s[2:3], s[14:15], s[10:11]
	s_delay_alu instid0(VALU_DEP_1) | instskip(NEXT) | instid1(VALU_DEP_1)
	v_lshrrev_b32_e32 v4, 1, v4
	v_lshl_add_u32 v5, v4, 1, v4
	v_mul_hi_u32 v4, 0x7878788, v0
	s_delay_alu instid0(VALU_DEP_2) | instskip(SKIP_3) | instid1(VALU_DEP_1)
	v_sub_nc_u32_e32 v3, v3, v5
	s_wait_kmcnt 0x0
	v_cmp_gt_u64_e32 vcc_lo, s[0:1], v[72:73]
	v_cmp_le_u64_e64 s0, s[0:1], v[72:73]
	s_and_saveexec_b32 s1, s0
	s_wait_alu 0xfffe
	s_xor_b32 s0, exec_lo, s1
; %bb.9:
	v_mul_u32_u24_e32 v1, 34, v4
                                        ; implicit-def: $vgpr4
	s_delay_alu instid0(VALU_DEP_1)
	v_sub_nc_u32_e32 v70, v0, v1
                                        ; implicit-def: $vgpr0
                                        ; implicit-def: $vgpr1_vgpr2
; %bb.10:
	s_wait_alu 0xfffe
	s_or_saveexec_b32 s1, s0
	s_load_b64 s[2:3], s[2:3], 0x0
	v_mul_u32_u24_e32 v3, 0x221, v3
	s_delay_alu instid0(VALU_DEP_1)
	v_lshlrev_b32_e32 v88, 4, v3
	s_xor_b32 exec_lo, exec_lo, s1
	s_cbranch_execz .LBB0_14
; %bb.11:
	s_add_nc_u64 s[10:11], s[12:13], s[10:11]
	v_lshlrev_b64_e32 v[1:2], 4, v[1:2]
	s_load_b64 s[10:11], s[10:11], 0x0
	s_wait_kmcnt 0x0
	v_mul_lo_u32 v7, s11, v72
	v_mul_lo_u32 v8, s10, v73
	v_mad_co_u64_u32 v[5:6], null, s10, v72, 0
	s_delay_alu instid0(VALU_DEP_1) | instskip(SKIP_1) | instid1(VALU_DEP_2)
	v_add3_u32 v6, v6, v8, v7
	v_mul_u32_u24_e32 v7, 34, v4
	v_lshlrev_b64_e32 v[4:5], 4, v[5:6]
	s_delay_alu instid0(VALU_DEP_2) | instskip(NEXT) | instid1(VALU_DEP_1)
	v_sub_nc_u32_e32 v70, v0, v7
	v_lshlrev_b32_e32 v71, 4, v70
	s_delay_alu instid0(VALU_DEP_3) | instskip(SKIP_1) | instid1(VALU_DEP_4)
	v_add_co_u32 v0, s0, s4, v4
	s_wait_alu 0xf1ff
	v_add_co_ci_u32_e64 v4, s0, s5, v5, s0
	s_mov_b32 s4, exec_lo
	s_delay_alu instid0(VALU_DEP_2) | instskip(SKIP_1) | instid1(VALU_DEP_2)
	v_add_co_u32 v0, s0, v0, v1
	s_wait_alu 0xf1ff
	v_add_co_ci_u32_e64 v1, s0, v4, v2, s0
	v_add3_u32 v2, 0, v88, v71
	s_delay_alu instid0(VALU_DEP_3) | instskip(SKIP_1) | instid1(VALU_DEP_3)
	v_add_co_u32 v64, s0, v0, v71
	s_wait_alu 0xf1ff
	v_add_co_ci_u32_e64 v65, s0, 0, v1, s0
	s_clause 0xf
	global_load_b128 v[4:7], v[64:65], off
	global_load_b128 v[8:11], v[64:65], off offset:544
	global_load_b128 v[12:15], v[64:65], off offset:1088
	;; [unrolled: 1-line block ×15, first 2 shown]
	s_wait_loadcnt 0xf
	ds_store_b128 v2, v[4:7]
	s_wait_loadcnt 0xe
	ds_store_b128 v2, v[8:11] offset:544
	s_wait_loadcnt 0xd
	ds_store_b128 v2, v[12:15] offset:1088
	s_wait_loadcnt 0xc
	ds_store_b128 v2, v[16:19] offset:1632
	s_wait_loadcnt 0xb
	ds_store_b128 v2, v[20:23] offset:2176
	s_wait_loadcnt 0xa
	ds_store_b128 v2, v[24:27] offset:2720
	s_wait_loadcnt 0x9
	ds_store_b128 v2, v[28:31] offset:3264
	s_wait_loadcnt 0x8
	ds_store_b128 v2, v[32:35] offset:3808
	s_wait_loadcnt 0x7
	ds_store_b128 v2, v[36:39] offset:4352
	s_wait_loadcnt 0x6
	ds_store_b128 v2, v[40:43] offset:4896
	s_wait_loadcnt 0x5
	ds_store_b128 v2, v[44:47] offset:5440
	s_wait_loadcnt 0x4
	ds_store_b128 v2, v[48:51] offset:5984
	s_wait_loadcnt 0x3
	ds_store_b128 v2, v[52:55] offset:6528
	s_wait_loadcnt 0x2
	ds_store_b128 v2, v[56:59] offset:7072
	s_wait_loadcnt 0x1
	ds_store_b128 v2, v[60:63] offset:7616
	s_wait_loadcnt 0x0
	ds_store_b128 v2, v[64:67] offset:8160
	v_cmpx_eq_u32_e32 33, v70
	s_cbranch_execz .LBB0_13
; %bb.12:
	global_load_b128 v[4:7], v[0:1], off offset:8704
	v_mov_b32_e32 v70, 33
	s_wait_loadcnt 0x0
	ds_store_b128 v2, v[4:7] offset:8176
.LBB0_13:
	s_wait_alu 0xfffe
	s_or_b32 exec_lo, exec_lo, s4
.LBB0_14:
	s_delay_alu instid0(SALU_CYCLE_1)
	s_or_b32 exec_lo, exec_lo, s1
	v_lshl_add_u32 v158, v3, 4, 0
	v_lshlrev_b32_e32 v6, 4, v70
	global_wb scope:SCOPE_SE
	s_wait_dscnt 0x0
	s_wait_kmcnt 0x0
	s_barrier_signal -1
	s_barrier_wait -1
	global_inv scope:SCOPE_SE
	v_add_nc_u32_e32 v255, v158, v6
	v_sub_nc_u32_e32 v7, v158, v6
	s_mov_b32 s1, exec_lo
	ds_load_b64 v[2:3], v255
	ds_load_b64 v[4:5], v7 offset:8704
	s_wait_dscnt 0x0
	v_add_f64_e32 v[0:1], v[2:3], v[4:5]
	v_add_f64_e64 v[2:3], v[2:3], -v[4:5]
                                        ; implicit-def: $vgpr4_vgpr5
	v_cmpx_ne_u32_e32 0, v70
	s_wait_alu 0xfffe
	s_xor_b32 s1, exec_lo, s1
	s_cbranch_execz .LBB0_16
; %bb.15:
	v_mov_b32_e32 v71, 0
	s_delay_alu instid0(VALU_DEP_1) | instskip(NEXT) | instid1(VALU_DEP_1)
	v_lshlrev_b64_e32 v[4:5], 4, v[70:71]
	v_add_co_u32 v4, s0, s8, v4
	s_wait_alu 0xf1ff
	s_delay_alu instid0(VALU_DEP_2)
	v_add_co_ci_u32_e64 v5, s0, s9, v5, s0
	global_load_b128 v[8:11], v[4:5], off offset:8432
	ds_load_b64 v[4:5], v7 offset:8712
	ds_load_b64 v[12:13], v255 offset:8
	s_wait_dscnt 0x0
	v_add_f64_e32 v[14:15], v[4:5], v[12:13]
	v_add_f64_e64 v[4:5], v[12:13], -v[4:5]
	s_wait_loadcnt 0x0
	v_fma_f64 v[12:13], v[2:3], v[10:11], v[0:1]
	s_delay_alu instid0(VALU_DEP_2) | instskip(SKIP_2) | instid1(VALU_DEP_4)
	v_fma_f64 v[16:17], v[14:15], v[10:11], v[4:5]
	v_fma_f64 v[0:1], -v[2:3], v[10:11], v[0:1]
	v_fma_f64 v[4:5], v[14:15], v[10:11], -v[4:5]
	v_fma_f64 v[10:11], -v[14:15], v[8:9], v[12:13]
	s_delay_alu instid0(VALU_DEP_4) | instskip(NEXT) | instid1(VALU_DEP_4)
	v_fma_f64 v[12:13], v[2:3], v[8:9], v[16:17]
	v_fma_f64 v[0:1], v[14:15], v[8:9], v[0:1]
	s_delay_alu instid0(VALU_DEP_4)
	v_fma_f64 v[2:3], v[2:3], v[8:9], v[4:5]
	v_dual_mov_b32 v4, v70 :: v_dual_mov_b32 v5, v71
	ds_store_b128 v255, v[10:13]
	ds_store_b128 v7, v[0:3] offset:8704
                                        ; implicit-def: $vgpr0_vgpr1
.LBB0_16:
	s_wait_alu 0xfffe
	s_and_not1_saveexec_b32 s0, s1
	s_cbranch_execz .LBB0_18
; %bb.17:
	ds_store_b128 v255, v[0:3]
	ds_load_b128 v[0:3], v158 offset:4352
	v_mov_b32_e32 v4, 0
	v_mov_b32_e32 v5, 0
	s_wait_dscnt 0x0
	v_add_f64_e32 v[0:1], v[0:1], v[0:1]
	v_mul_f64_e32 v[2:3], -2.0, v[2:3]
	ds_store_b128 v158, v[0:3] offset:4352
.LBB0_18:
	s_wait_alu 0xfffe
	s_or_b32 exec_lo, exec_lo, s0
	v_lshlrev_b64_e32 v[0:1], 4, v[4:5]
	s_add_nc_u64 s[0:1], s[8:9], 0x20f0
	v_add3_u32 v71, 0, v6, v88
	s_mov_b32 s33, exec_lo
	s_wait_alu 0xfffe
	s_delay_alu instid0(VALU_DEP_2)
	v_add_co_u32 v24, s0, s0, v0
	s_wait_alu 0xf1ff
	v_add_co_ci_u32_e64 v25, s0, s1, v1, s0
	s_clause 0x1
	global_load_b128 v[0:3], v[24:25], off offset:544
	global_load_b128 v[8:11], v[24:25], off offset:1088
	ds_load_b128 v[12:15], v255 offset:544
	ds_load_b128 v[16:19], v7 offset:8160
	global_load_b128 v[20:23], v[24:25], off offset:1632
	s_wait_dscnt 0x0
	v_add_f64_e32 v[4:5], v[12:13], v[16:17]
	v_add_f64_e32 v[26:27], v[18:19], v[14:15]
	v_add_f64_e64 v[16:17], v[12:13], -v[16:17]
	v_add_f64_e64 v[12:13], v[14:15], -v[18:19]
	s_wait_loadcnt 0x2
	s_delay_alu instid0(VALU_DEP_2) | instskip(NEXT) | instid1(VALU_DEP_2)
	v_fma_f64 v[14:15], v[16:17], v[2:3], v[4:5]
	v_fma_f64 v[18:19], v[26:27], v[2:3], v[12:13]
	v_fma_f64 v[28:29], -v[16:17], v[2:3], v[4:5]
	v_fma_f64 v[30:31], v[26:27], v[2:3], -v[12:13]
	s_delay_alu instid0(VALU_DEP_4) | instskip(NEXT) | instid1(VALU_DEP_4)
	v_fma_f64 v[2:3], -v[26:27], v[0:1], v[14:15]
	v_fma_f64 v[4:5], v[16:17], v[0:1], v[18:19]
	s_delay_alu instid0(VALU_DEP_4) | instskip(NEXT) | instid1(VALU_DEP_4)
	v_fma_f64 v[12:13], v[26:27], v[0:1], v[28:29]
	v_fma_f64 v[14:15], v[16:17], v[0:1], v[30:31]
	ds_store_b128 v255, v[2:5] offset:544
	ds_store_b128 v7, v[12:15] offset:8160
	ds_load_b128 v[0:3], v255 offset:1088
	ds_load_b128 v[12:15], v7 offset:7616
	global_load_b128 v[16:19], v[24:25], off offset:2176
	s_wait_dscnt 0x0
	v_add_f64_e32 v[4:5], v[0:1], v[12:13]
	v_add_f64_e32 v[26:27], v[14:15], v[2:3]
	v_add_f64_e64 v[12:13], v[0:1], -v[12:13]
	v_add_f64_e64 v[0:1], v[2:3], -v[14:15]
	s_wait_loadcnt 0x2
	s_delay_alu instid0(VALU_DEP_2) | instskip(NEXT) | instid1(VALU_DEP_2)
	v_fma_f64 v[2:3], v[12:13], v[10:11], v[4:5]
	v_fma_f64 v[14:15], v[26:27], v[10:11], v[0:1]
	v_fma_f64 v[4:5], -v[12:13], v[10:11], v[4:5]
	v_fma_f64 v[28:29], v[26:27], v[10:11], -v[0:1]
	s_delay_alu instid0(VALU_DEP_4) | instskip(NEXT) | instid1(VALU_DEP_4)
	v_fma_f64 v[0:1], -v[26:27], v[8:9], v[2:3]
	v_fma_f64 v[2:3], v[12:13], v[8:9], v[14:15]
	s_delay_alu instid0(VALU_DEP_4) | instskip(NEXT) | instid1(VALU_DEP_4)
	v_fma_f64 v[10:11], v[26:27], v[8:9], v[4:5]
	v_fma_f64 v[12:13], v[12:13], v[8:9], v[28:29]
	ds_store_b128 v255, v[0:3] offset:1088
	ds_store_b128 v7, v[10:13] offset:7616
	ds_load_b128 v[0:3], v255 offset:1632
	ds_load_b128 v[8:11], v7 offset:7072
	global_load_b128 v[12:15], v[24:25], off offset:2720
	s_wait_dscnt 0x0
	v_add_f64_e32 v[4:5], v[0:1], v[8:9]
	v_add_f64_e32 v[26:27], v[10:11], v[2:3]
	v_add_f64_e64 v[28:29], v[0:1], -v[8:9]
	v_add_f64_e64 v[0:1], v[2:3], -v[10:11]
	s_wait_loadcnt 0x2
	s_delay_alu instid0(VALU_DEP_2) | instskip(NEXT) | instid1(VALU_DEP_2)
	v_fma_f64 v[2:3], v[28:29], v[22:23], v[4:5]
	v_fma_f64 v[8:9], v[26:27], v[22:23], v[0:1]
	v_fma_f64 v[4:5], -v[28:29], v[22:23], v[4:5]
	v_fma_f64 v[10:11], v[26:27], v[22:23], -v[0:1]
	s_delay_alu instid0(VALU_DEP_4) | instskip(NEXT) | instid1(VALU_DEP_4)
	v_fma_f64 v[0:1], -v[26:27], v[20:21], v[2:3]
	v_fma_f64 v[2:3], v[28:29], v[20:21], v[8:9]
	s_delay_alu instid0(VALU_DEP_4) | instskip(NEXT) | instid1(VALU_DEP_4)
	v_fma_f64 v[8:9], v[26:27], v[20:21], v[4:5]
	v_fma_f64 v[10:11], v[28:29], v[20:21], v[10:11]
	ds_store_b128 v255, v[0:3] offset:1632
	ds_store_b128 v7, v[8:11] offset:7072
	ds_load_b128 v[0:3], v255 offset:2176
	ds_load_b128 v[8:11], v7 offset:6528
	global_load_b128 v[20:23], v[24:25], off offset:3264
	s_wait_dscnt 0x0
	v_add_f64_e32 v[4:5], v[0:1], v[8:9]
	v_add_f64_e32 v[26:27], v[10:11], v[2:3]
	v_add_f64_e64 v[28:29], v[0:1], -v[8:9]
	v_add_f64_e64 v[0:1], v[2:3], -v[10:11]
	s_wait_loadcnt 0x2
	s_delay_alu instid0(VALU_DEP_2) | instskip(NEXT) | instid1(VALU_DEP_2)
	v_fma_f64 v[2:3], v[28:29], v[18:19], v[4:5]
	v_fma_f64 v[8:9], v[26:27], v[18:19], v[0:1]
	v_fma_f64 v[4:5], -v[28:29], v[18:19], v[4:5]
	v_fma_f64 v[10:11], v[26:27], v[18:19], -v[0:1]
	s_delay_alu instid0(VALU_DEP_4) | instskip(NEXT) | instid1(VALU_DEP_4)
	v_fma_f64 v[0:1], -v[26:27], v[16:17], v[2:3]
	v_fma_f64 v[2:3], v[28:29], v[16:17], v[8:9]
	s_delay_alu instid0(VALU_DEP_4) | instskip(NEXT) | instid1(VALU_DEP_4)
	v_fma_f64 v[8:9], v[26:27], v[16:17], v[4:5]
	v_fma_f64 v[10:11], v[28:29], v[16:17], v[10:11]
	ds_store_b128 v255, v[0:3] offset:2176
	ds_store_b128 v7, v[8:11] offset:6528
	ds_load_b128 v[0:3], v255 offset:2720
	ds_load_b128 v[8:11], v7 offset:5984
	global_load_b128 v[16:19], v[24:25], off offset:3808
	s_wait_dscnt 0x0
	v_add_f64_e32 v[4:5], v[0:1], v[8:9]
	v_add_f64_e32 v[24:25], v[10:11], v[2:3]
	v_add_f64_e64 v[26:27], v[0:1], -v[8:9]
	v_add_f64_e64 v[0:1], v[2:3], -v[10:11]
	s_wait_loadcnt 0x2
	s_delay_alu instid0(VALU_DEP_2) | instskip(NEXT) | instid1(VALU_DEP_2)
	v_fma_f64 v[2:3], v[26:27], v[14:15], v[4:5]
	v_fma_f64 v[8:9], v[24:25], v[14:15], v[0:1]
	v_fma_f64 v[4:5], -v[26:27], v[14:15], v[4:5]
	v_fma_f64 v[10:11], v[24:25], v[14:15], -v[0:1]
	s_delay_alu instid0(VALU_DEP_4) | instskip(NEXT) | instid1(VALU_DEP_4)
	v_fma_f64 v[0:1], -v[24:25], v[12:13], v[2:3]
	v_fma_f64 v[2:3], v[26:27], v[12:13], v[8:9]
	s_delay_alu instid0(VALU_DEP_4) | instskip(NEXT) | instid1(VALU_DEP_4)
	v_fma_f64 v[8:9], v[24:25], v[12:13], v[4:5]
	v_fma_f64 v[10:11], v[26:27], v[12:13], v[10:11]
	ds_store_b128 v255, v[0:3] offset:2720
	ds_store_b128 v7, v[8:11] offset:5984
	ds_load_b128 v[0:3], v255 offset:3264
	ds_load_b128 v[8:11], v7 offset:5440
	s_wait_dscnt 0x0
	v_add_f64_e32 v[4:5], v[0:1], v[8:9]
	v_add_f64_e32 v[12:13], v[10:11], v[2:3]
	v_add_f64_e64 v[14:15], v[0:1], -v[8:9]
	v_add_f64_e64 v[0:1], v[2:3], -v[10:11]
	s_wait_loadcnt 0x1
	s_delay_alu instid0(VALU_DEP_2) | instskip(NEXT) | instid1(VALU_DEP_2)
	v_fma_f64 v[2:3], v[14:15], v[22:23], v[4:5]
	v_fma_f64 v[8:9], v[12:13], v[22:23], v[0:1]
	v_fma_f64 v[4:5], -v[14:15], v[22:23], v[4:5]
	v_fma_f64 v[10:11], v[12:13], v[22:23], -v[0:1]
	s_delay_alu instid0(VALU_DEP_4) | instskip(NEXT) | instid1(VALU_DEP_4)
	v_fma_f64 v[0:1], -v[12:13], v[20:21], v[2:3]
	v_fma_f64 v[2:3], v[14:15], v[20:21], v[8:9]
	s_delay_alu instid0(VALU_DEP_4) | instskip(NEXT) | instid1(VALU_DEP_4)
	v_fma_f64 v[8:9], v[12:13], v[20:21], v[4:5]
	v_fma_f64 v[10:11], v[14:15], v[20:21], v[10:11]
	ds_store_b128 v255, v[0:3] offset:3264
	ds_store_b128 v7, v[8:11] offset:5440
	ds_load_b128 v[0:3], v255 offset:3808
	ds_load_b128 v[8:11], v7 offset:4896
	s_wait_dscnt 0x0
	v_add_f64_e32 v[4:5], v[0:1], v[8:9]
	v_add_f64_e32 v[12:13], v[10:11], v[2:3]
	v_add_f64_e64 v[14:15], v[0:1], -v[8:9]
	v_add_f64_e64 v[0:1], v[2:3], -v[10:11]
	s_wait_loadcnt 0x0
	s_delay_alu instid0(VALU_DEP_2) | instskip(NEXT) | instid1(VALU_DEP_2)
	v_fma_f64 v[2:3], v[14:15], v[18:19], v[4:5]
	v_fma_f64 v[8:9], v[12:13], v[18:19], v[0:1]
	v_fma_f64 v[4:5], -v[14:15], v[18:19], v[4:5]
	v_fma_f64 v[10:11], v[12:13], v[18:19], -v[0:1]
	s_delay_alu instid0(VALU_DEP_4) | instskip(NEXT) | instid1(VALU_DEP_4)
	v_fma_f64 v[0:1], -v[12:13], v[16:17], v[2:3]
	v_fma_f64 v[2:3], v[14:15], v[16:17], v[8:9]
	s_delay_alu instid0(VALU_DEP_4) | instskip(NEXT) | instid1(VALU_DEP_4)
	v_fma_f64 v[8:9], v[12:13], v[16:17], v[4:5]
	v_fma_f64 v[10:11], v[14:15], v[16:17], v[10:11]
	ds_store_b128 v255, v[0:3] offset:3808
	ds_store_b128 v7, v[8:11] offset:4896
	global_wb scope:SCOPE_SE
	s_wait_dscnt 0x0
	s_barrier_signal -1
	s_barrier_wait -1
	global_inv scope:SCOPE_SE
	global_wb scope:SCOPE_SE
	s_barrier_signal -1
	s_barrier_wait -1
	global_inv scope:SCOPE_SE
	ds_load_b128 v[0:3], v255
	ds_load_b128 v[8:11], v71 offset:512
	ds_load_b128 v[82:85], v71 offset:1024
	;; [unrolled: 1-line block ×16, first 2 shown]
	global_wb scope:SCOPE_SE
	s_wait_dscnt 0x0
	s_barrier_signal -1
	s_barrier_wait -1
	global_inv scope:SCOPE_SE
	v_cmpx_gt_u32_e32 32, v70
	s_cbranch_execz .LBB0_20
; %bb.19:
	v_add_f64_e32 v[76:77], v[0:1], v[8:9]
	v_add_f64_e32 v[74:75], v[2:3], v[10:11]
	v_add_f64_e64 v[16:17], v[64:65], -v[60:61]
	v_add_f64_e64 v[18:19], v[66:67], -v[62:63]
	;; [unrolled: 1-line block ×3, first 2 shown]
	s_mov_b32 s22, 0x6c9a05f6
	s_mov_b32 s23, 0xbfe9895b
	;; [unrolled: 1-line block ×11, first 2 shown]
	s_wait_alu 0xfffe
	s_mov_b32 s40, s24
	s_mov_b32 s14, 0x3259b75e
	;; [unrolled: 1-line block ×11, first 2 shown]
	s_wait_alu 0xfffe
	s_mov_b32 s46, s30
	s_mov_b32 s17, 0x3fdc86fa
	;; [unrolled: 1-line block ×11, first 2 shown]
	v_add_f64_e32 v[76:77], v[76:77], v[82:83]
	v_add_f64_e32 v[74:75], v[74:75], v[84:85]
	s_mov_b32 s19, 0x3fe7a5f6
	s_mov_b32 s4, 0x910ea3b9
	;; [unrolled: 1-line block ×7, first 2 shown]
	v_mul_f64_e32 v[161:162], s[24:25], v[18:19]
	s_mov_b32 s49, 0x3fe9895b
	s_mov_b32 s48, s22
	v_mul_f64_e32 v[159:160], s[24:25], v[16:17]
	s_mov_b32 s51, 0x3feec746
	s_mov_b32 s50, s44
	v_mul_f64_e32 v[163:164], s[42:43], v[16:17]
	v_mul_f64_e32 v[165:166], s[42:43], v[18:19]
	;; [unrolled: 1-line block ×3, first 2 shown]
	s_wait_alu 0xfffe
	v_mul_f64_e32 v[191:192], s[28:29], v[16:17]
	v_mul_f64_e32 v[193:194], s[28:29], v[18:19]
	;; [unrolled: 1-line block ×6, first 2 shown]
	v_add_f64_e32 v[76:77], v[76:77], v[24:25]
	v_add_f64_e32 v[74:75], v[74:75], v[26:27]
	s_delay_alu instid0(VALU_DEP_2) | instskip(NEXT) | instid1(VALU_DEP_2)
	v_add_f64_e32 v[76:77], v[76:77], v[32:33]
	v_add_f64_e32 v[74:75], v[74:75], v[34:35]
	s_delay_alu instid0(VALU_DEP_2) | instskip(NEXT) | instid1(VALU_DEP_2)
	v_add_f64_e32 v[76:77], v[76:77], v[40:41]
	v_add_f64_e32 v[74:75], v[74:75], v[42:43]
	s_delay_alu instid0(VALU_DEP_2) | instskip(NEXT) | instid1(VALU_DEP_2)
	v_add_f64_e32 v[76:77], v[76:77], v[48:49]
	v_add_f64_e32 v[74:75], v[74:75], v[50:51]
	s_delay_alu instid0(VALU_DEP_2) | instskip(NEXT) | instid1(VALU_DEP_2)
	v_add_f64_e32 v[76:77], v[76:77], v[56:57]
	v_add_f64_e32 v[74:75], v[74:75], v[58:59]
	s_delay_alu instid0(VALU_DEP_2) | instskip(NEXT) | instid1(VALU_DEP_2)
	v_add_f64_e32 v[80:81], v[76:77], v[64:65]
	v_add_f64_e32 v[78:79], v[74:75], v[66:67]
	;; [unrolled: 1-line block ×5, first 2 shown]
	v_add_f64_e64 v[66:67], v[58:59], -v[54:55]
	v_add_f64_e32 v[56:57], v[48:49], v[44:45]
	v_add_f64_e32 v[80:81], v[80:81], v[60:61]
	;; [unrolled: 1-line block ×4, first 2 shown]
	v_add_f64_e64 v[62:63], v[48:49], -v[44:45]
	v_add_f64_e64 v[58:59], v[50:51], -v[46:47]
	v_add_f64_e32 v[48:49], v[40:41], v[36:37]
	v_mul_f64_e32 v[189:190], s[36:37], v[66:67]
	v_mul_f64_e32 v[217:218], s[42:43], v[66:67]
	;; [unrolled: 1-line block ×3, first 2 shown]
	v_add_f64_e32 v[80:81], v[80:81], v[52:53]
	v_add_f64_e32 v[78:79], v[78:79], v[54:55]
	;; [unrolled: 1-line block ×3, first 2 shown]
	v_add_f64_e64 v[54:55], v[40:41], -v[36:37]
	v_add_f64_e64 v[50:51], v[42:43], -v[38:39]
	v_add_f64_e32 v[40:41], v[32:33], v[28:29]
	v_mul_f64_e32 v[183:184], s[22:23], v[62:63]
	v_mul_f64_e32 v[185:186], s[22:23], v[58:59]
	;; [unrolled: 1-line block ×6, first 2 shown]
	v_add_f64_e32 v[80:81], v[80:81], v[44:45]
	v_add_f64_e32 v[78:79], v[78:79], v[46:47]
	;; [unrolled: 1-line block ×3, first 2 shown]
	v_add_f64_e64 v[46:47], v[32:33], -v[28:29]
	v_add_f64_e64 v[42:43], v[34:35], -v[30:31]
	v_add_f64_e32 v[32:33], v[24:25], v[20:21]
	v_mul_f64_e32 v[179:180], s[44:45], v[54:55]
	v_mul_f64_e32 v[181:182], s[44:45], v[50:51]
	;; [unrolled: 1-line block ×4, first 2 shown]
	v_add_f64_e32 v[80:81], v[80:81], v[36:37]
	v_add_f64_e32 v[78:79], v[78:79], v[38:39]
	v_add_f64_e32 v[36:37], v[34:35], v[30:31]
	v_add_f64_e64 v[34:35], v[26:27], -v[22:23]
	v_add_f64_e64 v[38:39], v[24:25], -v[20:21]
	v_add_f64_e32 v[24:25], v[84:85], v[14:15]
	v_mul_f64_e32 v[175:176], s[40:41], v[46:47]
	v_mul_f64_e32 v[177:178], s[40:41], v[42:43]
	;; [unrolled: 1-line block ×7, first 2 shown]
	v_add_f64_e32 v[80:81], v[80:81], v[28:29]
	v_add_f64_e32 v[78:79], v[78:79], v[30:31]
	v_add_f64_e32 v[28:29], v[26:27], v[22:23]
	v_add_f64_e64 v[30:31], v[82:83], -v[12:13]
	v_add_f64_e64 v[26:27], v[84:85], -v[14:15]
	v_mul_f64_e32 v[171:172], s[34:35], v[38:39]
	v_mul_f64_e32 v[173:174], s[34:35], v[34:35]
	;; [unrolled: 1-line block ×5, first 2 shown]
	v_add_f64_e32 v[80:81], v[80:81], v[20:21]
	v_add_f64_e32 v[78:79], v[78:79], v[22:23]
	;; [unrolled: 1-line block ×3, first 2 shown]
	v_mul_f64_e32 v[167:168], s[46:47], v[30:31]
	v_mul_f64_e32 v[169:170], s[46:47], v[26:27]
	;; [unrolled: 1-line block ×8, first 2 shown]
	v_add_f64_e32 v[12:13], v[80:81], v[12:13]
	v_add_f64_e32 v[80:81], v[10:11], v[6:7]
	v_add_f64_e64 v[10:11], v[10:11], -v[6:7]
	v_add_f64_e32 v[14:15], v[78:79], v[14:15]
	v_add_f64_e64 v[78:79], v[8:9], -v[4:5]
	v_add_f64_e32 v[8:9], v[8:9], v[4:5]
	v_add_f64_e32 v[4:5], v[12:13], v[4:5]
	v_mul_f64_e32 v[113:114], s[22:23], v[10:11]
	v_add_f64_e32 v[6:7], v[14:15], v[6:7]
	v_mul_f64_e32 v[84:85], s[44:45], v[78:79]
	v_mul_f64_e32 v[115:116], s[44:45], v[10:11]
	;; [unrolled: 1-line block ×12, first 2 shown]
	v_fma_f64 v[127:128], v[8:9], s[10:11], -v[113:114]
	v_fma_f64 v[113:114], v[8:9], s[10:11], v[113:114]
	scratch_store_b128 off, v[4:7], off     ; 16-byte Folded Spill
	v_fma_f64 v[101:102], v[80:81], s[12:13], v[84:85]
	v_fma_f64 v[129:130], v[8:9], s[12:13], -v[115:116]
	v_fma_f64 v[103:104], v[80:81], s[14:15], v[89:90]
	v_fma_f64 v[131:132], v[8:9], s[14:15], -v[117:118]
	v_fma_f64 v[105:106], v[80:81], s[16:17], v[91:92]
	v_fma_f64 v[107:108], v[80:81], s[18:19], v[93:94]
	;; [unrolled: 1-line block ×3, first 2 shown]
	v_fma_f64 v[12:13], v[80:81], s[0:1], -v[12:13]
	v_fma_f64 v[97:98], v[80:81], s[4:5], v[14:15]
	v_fma_f64 v[14:15], v[80:81], s[4:5], -v[14:15]
	v_fma_f64 v[99:100], v[80:81], s[10:11], v[82:83]
	v_fma_f64 v[82:83], v[80:81], s[10:11], -v[82:83]
	v_fma_f64 v[84:85], v[80:81], s[12:13], -v[84:85]
	;; [unrolled: 1-line block ×5, first 2 shown]
	v_fma_f64 v[109:110], v[80:81], s[20:21], v[78:79]
	v_fma_f64 v[111:112], v[80:81], s[20:21], -v[78:79]
	v_mul_f64_e32 v[78:79], s[28:29], v[10:11]
	v_mul_f64_e32 v[80:81], s[36:37], v[10:11]
	;; [unrolled: 1-line block ×3, first 2 shown]
	v_fma_f64 v[135:136], v[8:9], s[18:19], -v[121:122]
	v_fma_f64 v[115:116], v[8:9], s[12:13], v[115:116]
	v_fma_f64 v[117:118], v[8:9], s[14:15], v[117:118]
	v_fma_f64 v[133:134], v[8:9], s[16:17], -v[119:120]
	v_fma_f64 v[119:120], v[8:9], s[16:17], v[119:120]
	v_fma_f64 v[121:122], v[8:9], s[18:19], v[121:122]
	v_mul_f64_e32 v[6:7], s[48:49], v[86:87]
	v_add_f64_e32 v[127:128], v[0:1], v[127:128]
	v_add_f64_e32 v[4:5], v[0:1], v[113:114]
	;; [unrolled: 1-line block ×5, first 2 shown]
	v_mul_f64_e32 v[14:15], s[36:37], v[38:39]
	v_add_f64_e32 v[99:100], v[2:3], v[99:100]
	v_add_f64_e32 v[82:83], v[2:3], v[82:83]
	;; [unrolled: 1-line block ×4, first 2 shown]
	v_mul_f64_e32 v[84:85], s[34:35], v[54:55]
	v_fma_f64 v[123:124], v[8:9], s[0:1], -v[78:79]
	v_fma_f64 v[78:79], v[8:9], s[0:1], v[78:79]
	v_fma_f64 v[125:126], v[8:9], s[4:5], -v[80:81]
	v_fma_f64 v[80:81], v[8:9], s[4:5], v[80:81]
	;; [unrolled: 2-line block ×3, first 2 shown]
	v_add_f64_e32 v[10:11], v[2:3], v[95:96]
	v_add_f64_e32 v[115:116], v[0:1], v[115:116]
	;; [unrolled: 1-line block ×5, first 2 shown]
	scratch_store_b64 off, v[4:5], off offset:88 ; 8-byte Folded Spill
	v_add_f64_e32 v[4:5], v[2:3], v[101:102]
	v_add_f64_e32 v[101:102], v[2:3], v[93:94]
	v_fma_f64 v[89:90], v[28:29], s[4:5], v[14:15]
	v_add_f64_e32 v[95:96], v[0:1], v[123:124]
	v_add_f64_e32 v[123:124], v[0:1], v[78:79]
	;; [unrolled: 1-line block ×4, first 2 shown]
	scratch_store_b64 off, v[4:5], off offset:80 ; 8-byte Folded Spill
	v_add_f64_e32 v[4:5], v[0:1], v[129:130]
	v_mul_f64_e32 v[129:130], s[38:39], v[46:47]
	scratch_store_b64 off, v[4:5], off offset:72 ; 8-byte Folded Spill
	v_add_f64_e32 v[4:5], v[2:3], v[103:104]
	v_add_f64_e32 v[103:104], v[0:1], v[121:122]
	scratch_store_b64 off, v[4:5], off offset:64 ; 8-byte Folded Spill
	v_add_f64_e32 v[4:5], v[0:1], v[131:132]
	v_dual_mov_b32 v131, v88 :: v_dual_mov_b32 v88, v158
	scratch_store_b64 off, v[4:5], off offset:56 ; 8-byte Folded Spill
	v_add_f64_e32 v[4:5], v[2:3], v[105:106]
	v_add_f64_e32 v[105:106], v[2:3], v[91:92]
	scratch_store_b64 off, v[4:5], off offset:48 ; 8-byte Folded Spill
	v_add_f64_e32 v[4:5], v[2:3], v[107:108]
	v_add_f64_e32 v[107:108], v[2:3], v[111:112]
	scratch_store_b64 off, v[4:5], off offset:40 ; 8-byte Folded Spill
	v_add_f64_e32 v[4:5], v[0:1], v[135:136]
	scratch_store_b64 off, v[4:5], off offset:32 ; 8-byte Folded Spill
	v_add_f64_e32 v[4:5], v[2:3], v[109:110]
	v_add_f64_e32 v[109:110], v[0:1], v[8:9]
	v_mul_f64_e32 v[8:9], s[38:39], v[30:31]
	scratch_store_b64 off, v[4:5], off offset:24 ; 8-byte Folded Spill
	v_add_f64_e32 v[4:5], v[0:1], v[137:138]
	v_fma_f64 v[0:1], v[24:25], s[20:21], v[8:9]
	v_fma_f64 v[8:9], v[24:25], s[20:21], -v[8:9]
	scratch_store_b64 off, v[4:5], off offset:16 ; 8-byte Folded Spill
	v_add_f64_e32 v[0:1], v[0:1], v[10:11]
	v_mul_f64_e32 v[10:11], s[38:39], v[26:27]
	v_add_f64_e32 v[8:9], v[8:9], v[12:13]
	v_fma_f64 v[12:13], v[28:29], s[4:5], -v[14:15]
	v_fma_f64 v[14:15], v[74:75], s[14:15], v[161:162]
	v_mul_f64_e32 v[4:5], s[48:49], v[66:67]
	v_add_f64_e32 v[0:1], v[89:90], v[0:1]
	v_fma_f64 v[2:3], v[22:23], s[20:21], -v[10:11]
	v_mul_f64_e32 v[89:90], s[36:37], v[34:35]
	v_fma_f64 v[10:11], v[22:23], s[20:21], v[10:11]
	v_add_f64_e32 v[8:9], v[12:13], v[8:9]
	s_delay_alu instid0(VALU_DEP_4) | instskip(NEXT) | instid1(VALU_DEP_4)
	v_add_f64_e32 v[2:3], v[2:3], v[95:96]
	v_fma_f64 v[91:92], v[32:33], s[4:5], -v[89:90]
	s_delay_alu instid0(VALU_DEP_4) | instskip(SKIP_2) | instid1(VALU_DEP_4)
	v_add_f64_e32 v[10:11], v[10:11], v[123:124]
	v_fma_f64 v[12:13], v[32:33], s[4:5], v[89:90]
	v_mul_f64_e32 v[89:90], s[42:43], v[30:31]
	v_add_f64_e32 v[2:3], v[91:92], v[2:3]
	v_mul_f64_e32 v[91:92], s[30:31], v[46:47]
	s_delay_alu instid0(VALU_DEP_4) | instskip(NEXT) | instid1(VALU_DEP_2)
	v_add_f64_e32 v[10:11], v[12:13], v[10:11]
	v_fma_f64 v[93:94], v[36:37], s[18:19], v[91:92]
	v_fma_f64 v[12:13], v[36:37], s[18:19], -v[91:92]
	v_mul_f64_e32 v[91:92], s[42:43], v[26:27]
	s_delay_alu instid0(VALU_DEP_3) | instskip(SKIP_1) | instid1(VALU_DEP_4)
	v_add_f64_e32 v[0:1], v[93:94], v[0:1]
	v_mul_f64_e32 v[93:94], s[30:31], v[42:43]
	v_add_f64_e32 v[8:9], v[12:13], v[8:9]
	s_delay_alu instid0(VALU_DEP_2) | instskip(SKIP_2) | instid1(VALU_DEP_3)
	v_fma_f64 v[95:96], v[40:41], s[18:19], -v[93:94]
	v_fma_f64 v[12:13], v[40:41], s[18:19], v[93:94]
	v_mul_f64_e32 v[93:94], s[40:41], v[38:39]
	v_add_f64_e32 v[2:3], v[95:96], v[2:3]
	v_mul_f64_e32 v[95:96], s[22:23], v[54:55]
	s_delay_alu instid0(VALU_DEP_4) | instskip(NEXT) | instid1(VALU_DEP_2)
	v_add_f64_e32 v[10:11], v[12:13], v[10:11]
	v_fma_f64 v[111:112], v[44:45], s[10:11], v[95:96]
	v_fma_f64 v[12:13], v[44:45], s[10:11], -v[95:96]
	v_fma_f64 v[95:96], v[28:29], s[14:15], v[93:94]
	v_fma_f64 v[93:94], v[28:29], s[14:15], -v[93:94]
	s_delay_alu instid0(VALU_DEP_4) | instskip(SKIP_2) | instid1(VALU_DEP_2)
	v_add_f64_e32 v[0:1], v[111:112], v[0:1]
	v_mul_f64_e32 v[111:112], s[22:23], v[50:51]
	v_add_f64_e32 v[8:9], v[12:13], v[8:9]
	v_fma_f64 v[121:122], v[48:49], s[10:11], -v[111:112]
	v_fma_f64 v[12:13], v[48:49], s[10:11], v[111:112]
	s_delay_alu instid0(VALU_DEP_2) | instskip(SKIP_1) | instid1(VALU_DEP_3)
	v_add_f64_e32 v[2:3], v[121:122], v[2:3]
	v_mul_f64_e32 v[121:122], s[42:43], v[62:63]
	v_add_f64_e32 v[10:11], v[12:13], v[10:11]
	s_delay_alu instid0(VALU_DEP_2) | instskip(SKIP_1) | instid1(VALU_DEP_2)
	v_fma_f64 v[135:136], v[52:53], s[16:17], v[121:122]
	v_fma_f64 v[12:13], v[52:53], s[16:17], -v[121:122]
	v_add_f64_e32 v[0:1], v[135:136], v[0:1]
	v_mul_f64_e32 v[135:136], s[42:43], v[58:59]
	s_delay_alu instid0(VALU_DEP_3)
	v_add_f64_e32 v[8:9], v[12:13], v[8:9]
	s_mov_b32 s43, 0x3fc7851a
	s_mov_b32 s42, s28
	s_wait_alu 0xfffe
	v_mul_f64_e32 v[227:228], s[42:43], v[38:39]
	v_mul_f64_e32 v[229:230], s[42:43], v[34:35]
	s_delay_alu instid0(VALU_DEP_4) | instskip(SKIP_1) | instid1(VALU_DEP_2)
	v_fma_f64 v[137:138], v[56:57], s[16:17], -v[135:136]
	v_fma_f64 v[12:13], v[56:57], s[16:17], v[135:136]
	v_add_f64_e32 v[2:3], v[137:138], v[2:3]
	v_mul_f64_e32 v[137:138], s[44:45], v[86:87]
	s_delay_alu instid0(VALU_DEP_3) | instskip(NEXT) | instid1(VALU_DEP_2)
	v_add_f64_e32 v[10:11], v[12:13], v[10:11]
	v_fma_f64 v[155:156], v[60:61], s[12:13], v[137:138]
	v_fma_f64 v[12:13], v[60:61], s[12:13], -v[137:138]
	s_delay_alu instid0(VALU_DEP_2) | instskip(SKIP_1) | instid1(VALU_DEP_3)
	v_add_f64_e32 v[0:1], v[155:156], v[0:1]
	v_mul_f64_e32 v[155:156], s[44:45], v[66:67]
	v_add_f64_e32 v[8:9], v[12:13], v[8:9]
	s_delay_alu instid0(VALU_DEP_2) | instskip(SKIP_1) | instid1(VALU_DEP_2)
	v_fma_f64 v[12:13], v[64:65], s[12:13], v[155:156]
	v_fma_f64 v[157:158], v[64:65], s[12:13], -v[155:156]
	v_add_f64_e32 v[12:13], v[12:13], v[10:11]
	s_delay_alu instid0(VALU_DEP_2)
	v_add_f64_e32 v[157:158], v[157:158], v[2:3]
	v_fma_f64 v[2:3], v[76:77], s[14:15], v[159:160]
	v_fma_f64 v[10:11], v[76:77], s[14:15], -v[159:160]
	v_mul_f64_e32 v[159:160], s[44:45], v[16:17]
	v_add_f64_e32 v[143:144], v[14:15], v[12:13]
	v_fma_f64 v[12:13], v[24:25], s[16:17], v[89:90]
	v_fma_f64 v[14:15], v[22:23], s[16:17], -v[91:92]
	v_fma_f64 v[89:90], v[24:25], s[16:17], -v[89:90]
	v_fma_f64 v[91:92], v[22:23], s[16:17], v[91:92]
	v_add_f64_e32 v[149:150], v[2:3], v[0:1]
	v_fma_f64 v[0:1], v[74:75], s[14:15], -v[161:162]
	v_mul_f64_e32 v[161:162], s[44:45], v[18:19]
	s_mov_b32 s45, 0x3fe0d888
	s_mov_b32 s44, s36
	v_add_f64_e32 v[145:146], v[10:11], v[8:9]
	s_wait_alu 0xfffe
	v_mul_f64_e32 v[207:208], s[44:45], v[54:55]
	v_mul_f64_e32 v[209:210], s[44:45], v[50:51]
	;; [unrolled: 1-line block ×3, first 2 shown]
	v_add_f64_e32 v[12:13], v[12:13], v[97:98]
	v_add_f64_e32 v[14:15], v[14:15], v[125:126]
	;; [unrolled: 1-line block ×4, first 2 shown]
	v_mul_f64_e32 v[139:140], s[24:25], v[54:55]
	v_add_f64_e32 v[147:148], v[0:1], v[157:158]
	v_mul_f64_e32 v[141:142], s[24:25], v[50:51]
	v_dual_mov_b32 v0, v16 :: v_dual_mov_b32 v1, v17
	v_mul_f64_e32 v[16:17], s[34:35], v[50:51]
	v_fma_f64 v[10:11], v[56:57], s[4:5], v[8:9]
	s_delay_alu instid0(VALU_DEP_3)
	v_mul_f64_e32 v[219:220], s[38:39], v[0:1]
	v_mul_f64_e32 v[247:248], s[36:37], v[0:1]
	;; [unrolled: 1-line block ×3, first 2 shown]
	v_fma_f64 v[8:9], v[56:57], s[4:5], -v[8:9]
	v_add_f64_e32 v[12:13], v[95:96], v[12:13]
	v_mul_f64_e32 v[95:96], s[40:41], v[34:35]
	v_add_f64_e32 v[89:90], v[93:94], v[89:90]
	s_delay_alu instid0(VALU_DEP_2) | instskip(SKIP_2) | instid1(VALU_DEP_3)
	v_fma_f64 v[97:98], v[32:33], s[14:15], -v[95:96]
	v_fma_f64 v[93:94], v[32:33], s[14:15], v[95:96]
	v_fma_f64 v[95:96], v[74:75], s[12:13], v[161:162]
	v_add_f64_e32 v[14:15], v[97:98], v[14:15]
	v_mul_f64_e32 v[97:98], s[48:49], v[46:47]
	s_delay_alu instid0(VALU_DEP_4) | instskip(NEXT) | instid1(VALU_DEP_2)
	v_add_f64_e32 v[91:92], v[93:94], v[91:92]
	v_fma_f64 v[111:112], v[36:37], s[10:11], v[97:98]
	v_fma_f64 v[93:94], v[36:37], s[10:11], -v[97:98]
	s_delay_alu instid0(VALU_DEP_2) | instskip(SKIP_1) | instid1(VALU_DEP_3)
	v_add_f64_e32 v[12:13], v[111:112], v[12:13]
	v_mul_f64_e32 v[111:112], s[48:49], v[42:43]
	v_add_f64_e32 v[89:90], v[93:94], v[89:90]
	s_delay_alu instid0(VALU_DEP_2) | instskip(SKIP_1) | instid1(VALU_DEP_2)
	v_fma_f64 v[121:122], v[40:41], s[10:11], -v[111:112]
	v_fma_f64 v[93:94], v[40:41], s[10:11], v[111:112]
	v_add_f64_e32 v[14:15], v[121:122], v[14:15]
	v_mul_f64_e32 v[121:122], s[26:27], v[54:55]
	s_delay_alu instid0(VALU_DEP_3) | instskip(SKIP_1) | instid1(VALU_DEP_3)
	v_add_f64_e32 v[91:92], v[93:94], v[91:92]
	v_mul_f64_e32 v[54:55], s[28:29], v[54:55]
	v_fma_f64 v[123:124], v[44:45], s[20:21], v[121:122]
	v_fma_f64 v[93:94], v[44:45], s[20:21], -v[121:122]
	v_mul_f64_e32 v[121:122], s[50:51], v[30:31]
	s_delay_alu instid0(VALU_DEP_3) | instskip(SKIP_1) | instid1(VALU_DEP_4)
	v_add_f64_e32 v[12:13], v[123:124], v[12:13]
	v_mul_f64_e32 v[123:124], s[26:27], v[50:51]
	v_add_f64_e32 v[89:90], v[93:94], v[89:90]
	v_mul_f64_e32 v[50:51], s[28:29], v[50:51]
	s_delay_alu instid0(VALU_DEP_3) | instskip(SKIP_2) | instid1(VALU_DEP_3)
	v_fma_f64 v[125:126], v[48:49], s[20:21], -v[123:124]
	v_fma_f64 v[93:94], v[48:49], s[20:21], v[123:124]
	v_mul_f64_e32 v[123:124], s[50:51], v[26:27]
	v_add_f64_e32 v[14:15], v[125:126], v[14:15]
	v_mul_f64_e32 v[125:126], s[28:29], v[62:63]
	s_delay_alu instid0(VALU_DEP_4) | instskip(NEXT) | instid1(VALU_DEP_2)
	v_add_f64_e32 v[91:92], v[93:94], v[91:92]
	v_fma_f64 v[135:136], v[52:53], s[0:1], v[125:126]
	v_fma_f64 v[93:94], v[52:53], s[0:1], -v[125:126]
	v_mul_f64_e32 v[125:126], s[26:27], v[38:39]
	v_mul_f64_e32 v[38:39], s[30:31], v[38:39]
	s_delay_alu instid0(VALU_DEP_4) | instskip(SKIP_3) | instid1(VALU_DEP_3)
	v_add_f64_e32 v[12:13], v[135:136], v[12:13]
	v_mul_f64_e32 v[135:136], s[28:29], v[58:59]
	v_add_f64_e32 v[89:90], v[93:94], v[89:90]
	v_fma_f64 v[97:98], v[28:29], s[20:21], v[125:126]
	v_fma_f64 v[137:138], v[56:57], s[0:1], -v[135:136]
	v_fma_f64 v[93:94], v[56:57], s[0:1], v[135:136]
	v_mul_f64_e32 v[135:136], s[36:37], v[46:47]
	v_mul_f64_e32 v[46:47], s[34:35], v[46:47]
	s_delay_alu instid0(VALU_DEP_4) | instskip(SKIP_2) | instid1(VALU_DEP_2)
	v_add_f64_e32 v[14:15], v[137:138], v[14:15]
	v_mul_f64_e32 v[137:138], s[30:31], v[86:87]
	v_add_f64_e32 v[91:92], v[93:94], v[91:92]
	v_fma_f64 v[155:156], v[60:61], s[18:19], v[137:138]
	v_fma_f64 v[93:94], v[60:61], s[18:19], -v[137:138]
	v_mul_f64_e32 v[137:138], s[36:37], v[42:43]
	v_mul_f64_e32 v[42:43], s[34:35], v[42:43]
	s_delay_alu instid0(VALU_DEP_4) | instskip(SKIP_2) | instid1(VALU_DEP_2)
	v_add_f64_e32 v[12:13], v[155:156], v[12:13]
	v_mul_f64_e32 v[155:156], s[30:31], v[66:67]
	v_add_f64_e32 v[89:90], v[93:94], v[89:90]
	v_fma_f64 v[93:94], v[64:65], s[18:19], v[155:156]
	v_fma_f64 v[157:158], v[64:65], s[18:19], -v[155:156]
	v_mul_f64_e32 v[155:156], s[46:47], v[62:63]
	s_delay_alu instid0(VALU_DEP_3) | instskip(SKIP_1) | instid1(VALU_DEP_4)
	v_add_f64_e32 v[93:94], v[93:94], v[91:92]
	v_fma_f64 v[91:92], v[76:77], s[12:13], -v[159:160]
	v_add_f64_e32 v[157:158], v[157:158], v[14:15]
	v_fma_f64 v[14:15], v[76:77], s[12:13], v[159:160]
	v_mul_f64_e32 v[159:160], s[28:29], v[86:87]
	s_delay_alu instid0(VALU_DEP_4)
	v_add_f64_e32 v[91:92], v[91:92], v[89:90]
	v_add_f64_e32 v[89:90], v[95:96], v[93:94]
	v_fma_f64 v[93:94], v[24:25], s[12:13], v[121:122]
	v_fma_f64 v[95:96], v[22:23], s[12:13], -v[123:124]
	v_add_f64_e32 v[80:81], v[14:15], v[12:13]
	v_fma_f64 v[12:13], v[74:75], s[12:13], -v[161:162]
	v_mul_f64_e32 v[161:162], s[28:29], v[66:67]
	v_fma_f64 v[14:15], v[60:61], s[10:11], -v[6:7]
	v_mul_f64_e32 v[66:67], s[26:27], v[66:67]
	v_fma_f64 v[6:7], v[60:61], s[10:11], v[6:7]
	v_add_f64_e32 v[93:94], v[93:94], v[99:100]
	v_add_f64_e32 v[95:96], v[95:96], v[127:128]
	v_mul_f64_e32 v[127:128], s[26:27], v[34:35]
	v_add_f64_e32 v[78:79], v[12:13], v[157:158]
	v_mul_f64_e32 v[157:158], s[46:47], v[58:59]
	v_fma_f64 v[99:100], v[22:23], s[18:19], v[169:170]
	v_mul_f64_e32 v[12:13], s[36:37], v[62:63]
	v_mul_f64_e32 v[34:35], s[30:31], v[34:35]
	;; [unrolled: 1-line block ×4, first 2 shown]
	v_add_f64_e32 v[93:94], v[97:98], v[93:94]
	v_fma_f64 v[97:98], v[32:33], s[20:21], -v[127:128]
	v_add_f64_e32 v[99:100], v[99:100], v[109:110]
	v_fma_f64 v[109:110], v[28:29], s[0:1], -v[227:228]
	s_delay_alu instid0(VALU_DEP_3) | instskip(SKIP_1) | instid1(VALU_DEP_1)
	v_add_f64_e32 v[95:96], v[97:98], v[95:96]
	v_fma_f64 v[97:98], v[36:37], s[4:5], v[135:136]
	v_add_f64_e32 v[93:94], v[97:98], v[93:94]
	v_fma_f64 v[97:98], v[40:41], s[4:5], -v[137:138]
	s_delay_alu instid0(VALU_DEP_1) | instskip(SKIP_1) | instid1(VALU_DEP_1)
	v_add_f64_e32 v[95:96], v[97:98], v[95:96]
	v_fma_f64 v[97:98], v[44:45], s[14:15], v[139:140]
	v_add_f64_e32 v[93:94], v[97:98], v[93:94]
	v_fma_f64 v[97:98], v[48:49], s[14:15], -v[141:142]
	s_delay_alu instid0(VALU_DEP_1) | instskip(SKIP_1) | instid1(VALU_DEP_1)
	;; [unrolled: 5-line block ×5, first 2 shown]
	v_add_f64_e32 v[93:94], v[93:94], v[97:98]
	v_fma_f64 v[97:98], v[24:25], s[18:19], -v[167:168]
	v_add_f64_e32 v[97:98], v[97:98], v[107:108]
	v_fma_f64 v[107:108], v[28:29], s[16:17], -v[171:172]
	s_delay_alu instid0(VALU_DEP_1) | instskip(SKIP_1) | instid1(VALU_DEP_1)
	v_add_f64_e32 v[97:98], v[107:108], v[97:98]
	v_fma_f64 v[107:108], v[32:33], s[16:17], v[173:174]
	v_add_f64_e32 v[99:100], v[107:108], v[99:100]
	v_fma_f64 v[107:108], v[36:37], s[14:15], -v[175:176]
	s_delay_alu instid0(VALU_DEP_1) | instskip(SKIP_1) | instid1(VALU_DEP_1)
	v_add_f64_e32 v[97:98], v[107:108], v[97:98]
	v_fma_f64 v[107:108], v[40:41], s[14:15], v[177:178]
	;; [unrolled: 5-line block ×13, first 2 shown]
	v_add_f64_e32 v[101:102], v[101:102], v[107:108]
	v_fma_f64 v[107:108], v[24:25], s[10:11], -v[223:224]
	s_delay_alu instid0(VALU_DEP_1) | instskip(SKIP_1) | instid1(VALU_DEP_2)
	v_add_f64_e32 v[105:106], v[107:108], v[105:106]
	v_fma_f64 v[107:108], v[22:23], s[10:11], v[225:226]
	v_add_f64_e32 v[105:106], v[109:110], v[105:106]
	s_delay_alu instid0(VALU_DEP_2) | instskip(SKIP_3) | instid1(VALU_DEP_3)
	v_add_f64_e32 v[107:108], v[107:108], v[119:120]
	v_fma_f64 v[109:110], v[32:33], s[0:1], v[229:230]
	v_mul_f64_e32 v[119:120], s[22:23], v[0:1]
	v_mul_f64_e32 v[0:1], s[22:23], v[18:19]
	v_add_f64_e32 v[107:108], v[109:110], v[107:108]
	v_fma_f64 v[109:110], v[36:37], s[12:13], -v[231:232]
	s_delay_alu instid0(VALU_DEP_1) | instskip(SKIP_1) | instid1(VALU_DEP_1)
	v_add_f64_e32 v[105:106], v[109:110], v[105:106]
	v_fma_f64 v[109:110], v[40:41], s[12:13], v[233:234]
	v_add_f64_e32 v[107:108], v[109:110], v[107:108]
	v_fma_f64 v[109:110], v[44:45], s[18:19], -v[235:236]
	s_delay_alu instid0(VALU_DEP_1) | instskip(SKIP_1) | instid1(VALU_DEP_1)
	v_add_f64_e32 v[105:106], v[109:110], v[105:106]
	v_fma_f64 v[109:110], v[48:49], s[18:19], v[237:238]
	;; [unrolled: 5-line block ×5, first 2 shown]
	v_add_f64_e32 v[105:106], v[105:106], v[109:110]
	v_fma_f64 v[109:110], v[24:25], s[0:1], -v[251:252]
	s_delay_alu instid0(VALU_DEP_1) | instskip(SKIP_2) | instid1(VALU_DEP_2)
	v_add_f64_e32 v[109:110], v[109:110], v[151:152]
	v_mul_f64_e32 v[151:152], s[28:29], v[26:27]
	v_mul_f64_e32 v[26:27], s[44:45], v[26:27]
	v_fma_f64 v[111:112], v[22:23], s[0:1], v[151:152]
	s_delay_alu instid0(VALU_DEP_1) | instskip(SKIP_1) | instid1(VALU_DEP_1)
	v_add_f64_e32 v[111:112], v[111:112], v[117:118]
	v_fma_f64 v[117:118], v[28:29], s[12:13], -v[253:254]
	v_add_f64_e32 v[109:110], v[117:118], v[109:110]
	v_fma_f64 v[117:118], v[32:33], s[12:13], v[20:21]
	v_fma_f64 v[20:21], v[32:33], s[12:13], -v[20:21]
	s_delay_alu instid0(VALU_DEP_2) | instskip(SKIP_1) | instid1(VALU_DEP_1)
	v_add_f64_e32 v[111:112], v[117:118], v[111:112]
	v_fma_f64 v[117:118], v[36:37], s[20:21], -v[129:130]
	v_add_f64_e32 v[109:110], v[117:118], v[109:110]
	v_fma_f64 v[117:118], v[40:41], s[20:21], v[153:154]
	s_delay_alu instid0(VALU_DEP_1) | instskip(SKIP_1) | instid1(VALU_DEP_1)
	v_add_f64_e32 v[111:112], v[117:118], v[111:112]
	v_fma_f64 v[117:118], v[44:45], s[16:17], -v[84:85]
	v_add_f64_e32 v[109:110], v[117:118], v[109:110]
	v_fma_f64 v[117:118], v[48:49], s[16:17], v[16:17]
	v_fma_f64 v[16:17], v[48:49], s[16:17], -v[16:17]
	s_delay_alu instid0(VALU_DEP_2) | instskip(SKIP_2) | instid1(VALU_DEP_3)
	v_add_f64_e32 v[111:112], v[117:118], v[111:112]
	v_fma_f64 v[117:118], v[52:53], s[4:5], -v[12:13]
	v_fma_f64 v[12:13], v[52:53], s[4:5], v[12:13]
	v_add_f64_e32 v[10:11], v[10:11], v[111:112]
	s_delay_alu instid0(VALU_DEP_3) | instskip(SKIP_1) | instid1(VALU_DEP_2)
	v_add_f64_e32 v[109:110], v[117:118], v[109:110]
	v_mul_f64_e32 v[117:118], s[26:27], v[86:87]
	v_add_f64_e32 v[14:15], v[14:15], v[109:110]
	v_fma_f64 v[109:110], v[64:65], s[10:11], v[4:5]
	v_fma_f64 v[4:5], v[64:65], s[10:11], -v[4:5]
	s_delay_alu instid0(VALU_DEP_2) | instskip(SKIP_2) | instid1(VALU_DEP_2)
	v_add_f64_e32 v[10:11], v[109:110], v[10:11]
	v_fma_f64 v[109:110], v[76:77], s[18:19], -v[2:3]
	v_fma_f64 v[2:3], v[76:77], s[18:19], v[2:3]
	v_add_f64_e32 v[111:112], v[109:110], v[14:15]
	v_mul_f64_e32 v[14:15], s[30:31], v[18:19]
	scratch_load_b64 v[18:19], off, off offset:88 th:TH_LOAD_LU ; 8-byte Folded Reload
	v_fma_f64 v[109:110], v[74:75], s[18:19], v[14:15]
	s_delay_alu instid0(VALU_DEP_1) | instskip(SKIP_1) | instid1(VALU_DEP_1)
	v_add_f64_e32 v[109:110], v[109:110], v[10:11]
	v_mul_f64_e32 v[10:11], s[44:45], v[30:31]
	v_fma_f64 v[30:31], v[24:25], s[4:5], -v[10:11]
	v_fma_f64 v[10:11], v[24:25], s[4:5], v[10:11]
	s_delay_alu instid0(VALU_DEP_2) | instskip(SKIP_2) | instid1(VALU_DEP_2)
	v_add_f64_e32 v[30:31], v[30:31], v[113:114]
	v_fma_f64 v[113:114], v[22:23], s[4:5], v[26:27]
	v_fma_f64 v[26:27], v[22:23], s[4:5], -v[26:27]
	v_add_f64_e32 v[113:114], v[113:114], v[115:116]
	v_fma_f64 v[115:116], v[28:29], s[18:19], -v[38:39]
	s_delay_alu instid0(VALU_DEP_1) | instskip(SKIP_1) | instid1(VALU_DEP_1)
	v_add_f64_e32 v[30:31], v[115:116], v[30:31]
	v_fma_f64 v[115:116], v[32:33], s[18:19], v[34:35]
	v_add_f64_e32 v[113:114], v[115:116], v[113:114]
	v_fma_f64 v[115:116], v[36:37], s[16:17], -v[46:47]
	s_delay_alu instid0(VALU_DEP_1) | instskip(SKIP_1) | instid1(VALU_DEP_1)
	v_add_f64_e32 v[30:31], v[115:116], v[30:31]
	v_fma_f64 v[115:116], v[40:41], s[16:17], v[42:43]
	;; [unrolled: 5-line block ×5, first 2 shown]
	v_add_f64_e32 v[113:114], v[115:116], v[113:114]
	v_fma_f64 v[115:116], v[76:77], s[10:11], -v[119:120]
	s_delay_alu instid0(VALU_DEP_1) | instskip(SKIP_2) | instid1(VALU_DEP_2)
	v_add_f64_e32 v[115:116], v[115:116], v[30:31]
	v_fma_f64 v[30:31], v[74:75], s[10:11], v[0:1]
	v_fma_f64 v[0:1], v[74:75], s[10:11], -v[0:1]
	v_add_f64_e32 v[113:114], v[30:31], v[113:114]
	v_fma_f64 v[30:31], v[24:25], s[12:13], -v[121:122]
	v_fma_f64 v[121:122], v[28:29], s[20:21], -v[125:126]
	s_delay_alu instid0(VALU_DEP_2) | instskip(SKIP_2) | instid1(VALU_DEP_3)
	v_add_f64_e32 v[30:31], v[30:31], v[82:83]
	v_fma_f64 v[82:83], v[22:23], s[12:13], v[123:124]
	v_fma_f64 v[123:124], v[74:75], s[16:17], v[165:166]
	v_add_f64_e32 v[30:31], v[121:122], v[30:31]
	s_wait_loadcnt 0x0
	s_delay_alu instid0(VALU_DEP_3) | instskip(SKIP_2) | instid1(VALU_DEP_1)
	v_add_f64_e32 v[82:83], v[82:83], v[18:19]
	scratch_load_b64 v[18:19], off, off offset:80 th:TH_LOAD_LU ; 8-byte Folded Reload
	v_fma_f64 v[121:122], v[32:33], s[20:21], v[127:128]
	v_add_f64_e32 v[82:83], v[121:122], v[82:83]
	v_fma_f64 v[121:122], v[36:37], s[4:5], -v[135:136]
	s_delay_alu instid0(VALU_DEP_1) | instskip(SKIP_1) | instid1(VALU_DEP_1)
	v_add_f64_e32 v[30:31], v[121:122], v[30:31]
	v_fma_f64 v[121:122], v[40:41], s[4:5], v[137:138]
	v_add_f64_e32 v[82:83], v[121:122], v[82:83]
	v_fma_f64 v[121:122], v[44:45], s[14:15], -v[139:140]
	s_delay_alu instid0(VALU_DEP_1) | instskip(SKIP_1) | instid1(VALU_DEP_1)
	v_add_f64_e32 v[30:31], v[121:122], v[30:31]
	v_fma_f64 v[121:122], v[48:49], s[14:15], v[141:142]
	v_add_f64_e32 v[82:83], v[121:122], v[82:83]
	v_fma_f64 v[121:122], v[52:53], s[18:19], -v[155:156]
	s_delay_alu instid0(VALU_DEP_1) | instskip(SKIP_3) | instid1(VALU_DEP_3)
	v_add_f64_e32 v[30:31], v[121:122], v[30:31]
	v_fma_f64 v[121:122], v[56:57], s[18:19], v[157:158]
	v_mov_b32_e32 v158, v88
	v_mov_b32_e32 v88, v131
	v_add_f64_e32 v[82:83], v[121:122], v[82:83]
	v_fma_f64 v[121:122], v[60:61], s[0:1], -v[159:160]
	s_delay_alu instid0(VALU_DEP_1)
	v_add_f64_e32 v[30:31], v[121:122], v[30:31]
	v_fma_f64 v[121:122], v[64:65], s[0:1], v[161:162]
	s_wait_loadcnt 0x0
	v_add_f64_e32 v[10:11], v[10:11], v[18:19]
	scratch_load_b64 v[18:19], off, off offset:72 th:TH_LOAD_LU ; 8-byte Folded Reload
	v_add_f64_e32 v[82:83], v[121:122], v[82:83]
	v_fma_f64 v[121:122], v[76:77], s[16:17], -v[163:164]
	s_delay_alu instid0(VALU_DEP_2) | instskip(NEXT) | instid1(VALU_DEP_2)
	v_add_f64_e32 v[135:136], v[123:124], v[82:83]
	v_add_f64_e32 v[137:138], v[121:122], v[30:31]
	v_fma_f64 v[30:31], v[28:29], s[18:19], v[38:39]
	s_delay_alu instid0(VALU_DEP_1)
	v_add_f64_e32 v[10:11], v[30:31], v[10:11]
	v_fma_f64 v[30:31], v[32:33], s[18:19], -v[34:35]
	s_wait_loadcnt 0x0
	v_add_f64_e32 v[26:27], v[26:27], v[18:19]
	scratch_load_b64 v[18:19], off, off offset:56 th:TH_LOAD_LU ; 8-byte Folded Reload
	v_add_f64_e32 v[26:27], v[30:31], v[26:27]
	v_fma_f64 v[30:31], v[36:37], s[16:17], v[46:47]
	s_delay_alu instid0(VALU_DEP_1) | instskip(SKIP_1) | instid1(VALU_DEP_1)
	v_add_f64_e32 v[10:11], v[30:31], v[10:11]
	v_fma_f64 v[30:31], v[40:41], s[16:17], -v[42:43]
	v_add_f64_e32 v[26:27], v[30:31], v[26:27]
	v_fma_f64 v[30:31], v[44:45], s[0:1], v[54:55]
	s_delay_alu instid0(VALU_DEP_1) | instskip(SKIP_1) | instid1(VALU_DEP_1)
	v_add_f64_e32 v[10:11], v[30:31], v[10:11]
	v_fma_f64 v[30:31], v[48:49], s[0:1], -v[50:51]
	;; [unrolled: 5-line block ×4, first 2 shown]
	v_add_f64_e32 v[26:27], v[30:31], v[26:27]
	v_fma_f64 v[30:31], v[76:77], s[10:11], v[119:120]
	s_delay_alu instid0(VALU_DEP_2) | instskip(NEXT) | instid1(VALU_DEP_2)
	v_add_f64_e32 v[121:122], v[0:1], v[26:27]
	v_add_f64_e32 v[123:124], v[30:31], v[10:11]
	scratch_load_b64 v[10:11], off, off offset:64 th:TH_LOAD_LU ; 8-byte Folded Reload
	v_fma_f64 v[0:1], v[24:25], s[0:1], v[251:252]
	v_fma_f64 v[26:27], v[28:29], s[12:13], v[253:254]
	s_wait_loadcnt 0x0
	s_delay_alu instid0(VALU_DEP_2) | instskip(SKIP_1) | instid1(VALU_DEP_2)
	v_add_f64_e32 v[0:1], v[0:1], v[10:11]
	v_fma_f64 v[10:11], v[22:23], s[0:1], -v[151:152]
	v_add_f64_e32 v[0:1], v[26:27], v[0:1]
	s_delay_alu instid0(VALU_DEP_2) | instskip(SKIP_1) | instid1(VALU_DEP_2)
	v_add_f64_e32 v[10:11], v[10:11], v[18:19]
	v_fma_f64 v[18:19], v[44:45], s[16:17], v[84:85]
	v_add_f64_e32 v[10:11], v[20:21], v[10:11]
	v_fma_f64 v[20:21], v[36:37], s[20:21], v[129:130]
	s_delay_alu instid0(VALU_DEP_1) | instskip(SKIP_1) | instid1(VALU_DEP_2)
	v_add_f64_e32 v[0:1], v[20:21], v[0:1]
	v_fma_f64 v[20:21], v[40:41], s[20:21], -v[153:154]
	v_add_f64_e32 v[0:1], v[18:19], v[0:1]
	s_delay_alu instid0(VALU_DEP_2) | instskip(NEXT) | instid1(VALU_DEP_2)
	v_add_f64_e32 v[10:11], v[20:21], v[10:11]
	v_add_f64_e32 v[0:1], v[12:13], v[0:1]
	s_delay_alu instid0(VALU_DEP_2) | instskip(NEXT) | instid1(VALU_DEP_2)
	v_add_f64_e32 v[10:11], v[16:17], v[10:11]
	v_add_f64_e32 v[0:1], v[6:7], v[0:1]
	s_delay_alu instid0(VALU_DEP_2) | instskip(SKIP_1) | instid1(VALU_DEP_3)
	v_add_f64_e32 v[8:9], v[8:9], v[10:11]
	v_fma_f64 v[6:7], v[74:75], s[18:19], -v[14:15]
	v_add_f64_e32 v[127:128], v[2:3], v[0:1]
	scratch_load_b64 v[2:3], off, off offset:48 th:TH_LOAD_LU ; 8-byte Folded Reload
	v_add_f64_e32 v[4:5], v[4:5], v[8:9]
	v_fma_f64 v[0:1], v[24:25], s[10:11], v[223:224]
	scratch_load_b64 v[8:9], off, off offset:16 th:TH_LOAD_LU ; 8-byte Folded Reload
	v_add_f64_e32 v[125:126], v[6:7], v[4:5]
	v_fma_f64 v[4:5], v[28:29], s[0:1], v[227:228]
	v_fma_f64 v[6:7], v[74:75], s[4:5], -v[249:250]
	s_wait_loadcnt 0x1
	v_add_f64_e32 v[0:1], v[0:1], v[2:3]
	v_fma_f64 v[2:3], v[22:23], s[10:11], -v[225:226]
	s_delay_alu instid0(VALU_DEP_2) | instskip(NEXT) | instid1(VALU_DEP_2)
	v_add_f64_e32 v[0:1], v[4:5], v[0:1]
	v_add_f64_e32 v[2:3], v[2:3], v[133:134]
	v_fma_f64 v[4:5], v[32:33], s[0:1], -v[229:230]
	s_delay_alu instid0(VALU_DEP_1) | instskip(SKIP_1) | instid1(VALU_DEP_1)
	v_add_f64_e32 v[2:3], v[4:5], v[2:3]
	v_fma_f64 v[4:5], v[36:37], s[12:13], v[231:232]
	v_add_f64_e32 v[0:1], v[4:5], v[0:1]
	v_fma_f64 v[4:5], v[40:41], s[12:13], -v[233:234]
	s_delay_alu instid0(VALU_DEP_1) | instskip(SKIP_1) | instid1(VALU_DEP_1)
	v_add_f64_e32 v[2:3], v[4:5], v[2:3]
	v_fma_f64 v[4:5], v[44:45], s[18:19], v[235:236]
	;; [unrolled: 5-line block ×4, first 2 shown]
	v_add_f64_e32 v[0:1], v[4:5], v[0:1]
	v_fma_f64 v[4:5], v[64:65], s[14:15], -v[245:246]
	s_delay_alu instid0(VALU_DEP_1) | instskip(SKIP_1) | instid1(VALU_DEP_2)
	v_add_f64_e32 v[2:3], v[4:5], v[2:3]
	v_fma_f64 v[4:5], v[76:77], s[4:5], v[247:248]
	v_add_f64_e32 v[129:130], v[6:7], v[2:3]
	scratch_load_b64 v[2:3], off, off offset:40 th:TH_LOAD_LU ; 8-byte Folded Reload
	v_add_f64_e32 v[131:132], v[4:5], v[0:1]
	scratch_load_b64 v[4:5], off, off offset:32 th:TH_LOAD_LU ; 8-byte Folded Reload
	v_fma_f64 v[0:1], v[24:25], s[14:15], v[195:196]
	v_fma_f64 v[6:7], v[74:75], s[20:21], -v[221:222]
	s_wait_loadcnt 0x1
	s_delay_alu instid0(VALU_DEP_2) | instskip(SKIP_2) | instid1(VALU_DEP_1)
	v_add_f64_e32 v[0:1], v[0:1], v[2:3]
	v_fma_f64 v[2:3], v[22:23], s[14:15], -v[197:198]
	s_wait_loadcnt 0x0
	v_add_f64_e32 v[2:3], v[2:3], v[4:5]
	v_fma_f64 v[4:5], v[28:29], s[10:11], v[199:200]
	s_delay_alu instid0(VALU_DEP_1) | instskip(SKIP_1) | instid1(VALU_DEP_1)
	v_add_f64_e32 v[0:1], v[4:5], v[0:1]
	v_fma_f64 v[4:5], v[32:33], s[10:11], -v[201:202]
	v_add_f64_e32 v[2:3], v[4:5], v[2:3]
	v_fma_f64 v[4:5], v[36:37], s[0:1], v[203:204]
	s_delay_alu instid0(VALU_DEP_1) | instskip(SKIP_1) | instid1(VALU_DEP_1)
	v_add_f64_e32 v[0:1], v[4:5], v[0:1]
	v_fma_f64 v[4:5], v[40:41], s[0:1], -v[205:206]
	;; [unrolled: 5-line block ×5, first 2 shown]
	v_add_f64_e32 v[2:3], v[4:5], v[2:3]
	v_fma_f64 v[4:5], v[76:77], s[20:21], v[219:220]
	s_delay_alu instid0(VALU_DEP_2)
	v_add_f64_e32 v[82:83], v[6:7], v[2:3]
	scratch_load_b64 v[6:7], off, off offset:24 th:TH_LOAD_LU ; 8-byte Folded Reload
	v_add_f64_e32 v[84:85], v[4:5], v[0:1]
	v_fma_f64 v[0:1], v[24:25], s[18:19], v[167:168]
	v_fma_f64 v[2:3], v[22:23], s[18:19], -v[169:170]
	v_fma_f64 v[4:5], v[28:29], s[16:17], v[171:172]
	s_delay_alu instid0(VALU_DEP_2) | instskip(SKIP_4) | instid1(VALU_DEP_2)
	v_add_f64_e32 v[2:3], v[2:3], v[8:9]
	v_fma_f64 v[8:9], v[36:37], s[14:15], v[175:176]
	s_wait_loadcnt 0x0
	v_add_f64_e32 v[0:1], v[0:1], v[6:7]
	v_fma_f64 v[6:7], v[32:33], s[16:17], -v[173:174]
	v_add_f64_e32 v[0:1], v[4:5], v[0:1]
	v_fma_f64 v[4:5], v[40:41], s[14:15], -v[177:178]
	s_delay_alu instid0(VALU_DEP_3) | instskip(SKIP_1) | instid1(VALU_DEP_4)
	v_add_f64_e32 v[2:3], v[6:7], v[2:3]
	v_fma_f64 v[6:7], v[44:45], s[12:13], v[179:180]
	v_add_f64_e32 v[0:1], v[8:9], v[0:1]
	v_fma_f64 v[8:9], v[48:49], s[12:13], -v[181:182]
	s_delay_alu instid0(VALU_DEP_4) | instskip(SKIP_1) | instid1(VALU_DEP_4)
	v_add_f64_e32 v[2:3], v[4:5], v[2:3]
	v_fma_f64 v[4:5], v[52:53], s[10:11], v[183:184]
	v_add_f64_e32 v[0:1], v[6:7], v[0:1]
	v_fma_f64 v[6:7], v[56:57], s[10:11], -v[185:186]
	s_delay_alu instid0(VALU_DEP_4) | instskip(SKIP_1) | instid1(VALU_DEP_4)
	;; [unrolled: 5-line block ×3, first 2 shown]
	v_add_f64_e32 v[2:3], v[6:7], v[2:3]
	v_fma_f64 v[6:7], v[76:77], s[0:1], v[191:192]
	v_add_f64_e32 v[0:1], v[8:9], v[0:1]
	v_fma_f64 v[8:9], v[74:75], s[0:1], -v[193:194]
	s_delay_alu instid0(VALU_DEP_4) | instskip(NEXT) | instid1(VALU_DEP_3)
	v_add_f64_e32 v[2:3], v[4:5], v[2:3]
	v_add_f64_e32 v[18:19], v[6:7], v[0:1]
	v_mul_u32_u24_e32 v0, 0x110, v70
	s_delay_alu instid0(VALU_DEP_3)
	v_add_f64_e32 v[16:17], v[8:9], v[2:3]
	scratch_load_b128 v[1:4], off, off th:TH_LOAD_LU ; 16-byte Folded Reload
	v_add3_u32 v0, 0, v0, v88
	s_wait_loadcnt 0x0
	ds_store_b128 v0, v[1:4]
	ds_store_b128 v0, v[97:100] offset:16
	ds_store_b128 v0, v[101:104] offset:32
	;; [unrolled: 1-line block ×16, first 2 shown]
.LBB0_20:
	s_or_b32 exec_lo, exec_lo, s33
	v_add_nc_u16 v4, v70, 34
	v_add_nc_u16 v5, v70, 0x44
	v_subrev_nc_u32_e32 v6, 17, v70
	v_add_nc_u16 v13, v70, 0x66
	v_cmp_gt_u32_e64 s0, 17, v70
	v_and_b32_e32 v0, 0xff, v4
	v_and_b32_e32 v1, 0xff, v5
	v_add_nc_u16 v14, v70, 0x88
	v_add_nc_u16 v15, v70, 0xaa
	;; [unrolled: 1-line block ×3, first 2 shown]
	v_mul_lo_u16 v0, 0xf1, v0
	v_mul_lo_u16 v2, 0xf1, v1
	v_and_b32_e32 v9, 0xff, v14
	v_dual_mov_b32 v1, 0 :: v_dual_add_nc_u32 v12, 0xee, v70
	s_delay_alu instid0(VALU_DEP_4)
	v_lshrrev_b16 v3, 12, v0
	s_wait_alu 0xf1ff
	v_cndmask_b32_e64 v0, v6, v70, s0
	v_and_b32_e32 v6, 0xff, v13
	v_and_b32_e32 v17, 0xff, v15
	v_lshrrev_b16 v2, 12, v2
	v_mul_lo_u16 v19, 0xf1, v9
	v_and_b32_e32 v20, 0xff, v16
	v_mul_lo_u16 v18, 0xf1, v6
	v_and_b32_e32 v21, 0xffff, v12
	v_mul_lo_u16 v17, 0xf1, v17
	v_mul_lo_u16 v7, v3, 17
	;; [unrolled: 1-line block ×3, first 2 shown]
	v_lshrrev_b16 v93, 12, v18
	v_lshrrev_b16 v94, 12, v19
	v_mul_lo_u16 v18, 0xf1, v20
	v_mul_u32_u24_e32 v19, 0xf0f1, v21
	v_lshrrev_b16 v95, 12, v17
	v_mul_lo_u16 v20, v93, 17
	v_sub_nc_u16 v7, v4, v7
	v_sub_nc_u16 v8, v5, v8
	v_lshlrev_b64_e32 v[4:5], 4, v[0:1]
	v_mul_lo_u16 v17, v94, 17
	v_lshrrev_b16 v96, 12, v18
	v_lshrrev_b32_e32 v97, 20, v19
	v_sub_nc_u16 v13, v13, v20
	v_mul_lo_u16 v18, v95, 17
	v_and_b32_e32 v7, 0xff, v7
	v_sub_nc_u16 v14, v14, v17
	v_mul_lo_u16 v17, v96, 17
	v_and_b32_e32 v8, 0xff, v8
	v_add_co_u32 v4, s0, s8, v4
	v_mul_lo_u16 v19, v97, 17
	s_wait_alu 0xf1ff
	v_add_co_ci_u32_e64 v5, s0, s9, v5, s0
	v_and_b32_e32 v13, 0xff, v13
	v_sub_nc_u16 v15, v15, v18
	v_lshlrev_b32_e32 v91, 4, v7
	v_and_b32_e32 v14, 0xff, v14
	v_sub_nc_u16 v16, v16, v17
	v_lshlrev_b32_e32 v92, 4, v8
	v_sub_nc_u16 v12, v12, v19
	global_wb scope:SCOPE_SE
	s_wait_storecnt_dscnt 0x0
	s_barrier_signal -1
	s_barrier_wait -1
	global_inv scope:SCOPE_SE
	s_clause 0x1
	global_load_b128 v[4:7], v[4:5], off
	global_load_b128 v[8:11], v91, s[8:9]
	v_lshlrev_b32_e32 v98, 4, v13
	v_and_b32_e32 v17, 0xff, v15
	v_lshlrev_b32_e32 v99, 4, v14
	v_and_b32_e32 v20, 0xff, v16
	v_and_b32_e32 v24, 0xffff, v12
	global_load_b128 v[12:15], v92, s[8:9]
	v_lshlrev_b32_e32 v100, 4, v17
	global_load_b128 v[16:19], v98, s[8:9]
	v_lshlrev_b32_e32 v101, 4, v20
	;; [unrolled: 2-line block ×3, first 2 shown]
	s_clause 0x2
	global_load_b128 v[24:27], v100, s[8:9]
	global_load_b128 v[28:31], v101, s[8:9]
	;; [unrolled: 1-line block ×3, first 2 shown]
	ds_load_b128 v[36:39], v71 offset:4352
	ds_load_b128 v[40:43], v71 offset:4896
	;; [unrolled: 1-line block ×8, first 2 shown]
	v_cmp_lt_u32_e64 s0, 16, v70
	v_lshlrev_b32_e32 v0, 4, v0
	v_and_b32_e32 v2, 0xffff, v2
	s_mov_b32 s5, 0x3fe6a09e
	s_mov_b32 s15, 0x3fed906b
	;; [unrolled: 1-line block ×4, first 2 shown]
	v_mad_u32_u24 v2, 0x220, v2, 0
	s_mov_b32 s13, 0xbfd87de2
	s_wait_alu 0xfffe
	s_mov_b32 s12, s10
	s_delay_alu instid0(VALU_DEP_1)
	v_add3_u32 v2, v2, v92, v88
	s_wait_loadcnt_dscnt 0x707
	v_mul_f64_e32 v[74:75], v[38:39], v[6:7]
	v_mul_f64_e32 v[6:7], v[36:37], v[6:7]
	s_wait_loadcnt_dscnt 0x606
	v_mul_f64_e32 v[76:77], v[42:43], v[10:11]
	v_mul_f64_e32 v[10:11], v[40:41], v[10:11]
	;; [unrolled: 3-line block ×8, first 2 shown]
	v_fma_f64 v[36:37], v[36:37], v[4:5], v[74:75]
	v_fma_f64 v[38:39], v[38:39], v[4:5], -v[6:7]
	v_fma_f64 v[40:41], v[40:41], v[8:9], v[76:77]
	v_fma_f64 v[42:43], v[42:43], v[8:9], -v[10:11]
	v_cndmask_b32_e64 v74, 0, 0x220, s0
	v_mul_u32_u24_e32 v75, 15, v70
	v_and_b32_e32 v76, 0xffff, v94
	v_fma_f64 v[44:45], v[44:45], v[12:13], v[78:79]
	v_fma_f64 v[46:47], v[46:47], v[12:13], -v[14:15]
	v_fma_f64 v[48:49], v[48:49], v[16:17], v[80:81]
	v_fma_f64 v[50:51], v[50:51], v[16:17], -v[18:19]
	;; [unrolled: 2-line block ×6, first 2 shown]
	ds_load_b128 v[4:7], v255
	ds_load_b128 v[8:11], v71 offset:544
	ds_load_b128 v[12:15], v71 offset:1088
	;; [unrolled: 1-line block ×7, first 2 shown]
	v_add_nc_u32_e32 v74, 0, v74
	v_and_b32_e32 v77, 0xffff, v95
	v_and_b32_e32 v78, 0xffff, v96
	v_lshlrev_b32_e32 v75, 4, v75
	v_mad_u32_u24 v79, 0x220, v97, 0
	v_add3_u32 v0, v74, v0, v88
	v_and_b32_e32 v74, 0xffff, v3
	v_mad_u32_u24 v76, 0x220, v76, 0
	v_mad_u32_u24 v77, 0x220, v77, 0
	v_mad_u32_u24 v78, 0x220, v78, 0
	global_wb scope:SCOPE_SE
	s_wait_dscnt 0x0
	v_mad_u32_u24 v74, 0x220, v74, 0
	s_barrier_signal -1
	s_barrier_wait -1
	global_inv scope:SCOPE_SE
	v_add3_u32 v76, v76, v99, v88
	v_add3_u32 v74, v74, v91, v88
	v_add3_u32 v77, v77, v100, v88
	v_add_f64_e64 v[36:37], v[4:5], -v[36:37]
	v_add_f64_e64 v[38:39], v[6:7], -v[38:39]
	;; [unrolled: 1-line block ×4, first 2 shown]
	v_add3_u32 v78, v78, v101, v88
	v_add3_u32 v79, v79, v102, v88
	s_mov_b32 s0, 0x667f3bcd
	v_add_f64_e64 v[44:45], v[12:13], -v[44:45]
	v_add_f64_e64 v[46:47], v[14:15], -v[46:47]
	v_add_f64_e64 v[48:49], v[16:17], -v[48:49]
	v_add_f64_e64 v[50:51], v[18:19], -v[50:51]
	v_add_f64_e64 v[52:53], v[20:21], -v[52:53]
	v_add_f64_e64 v[54:55], v[22:23], -v[54:55]
	v_add_f64_e64 v[56:57], v[24:25], -v[56:57]
	v_add_f64_e64 v[58:59], v[26:27], -v[58:59]
	v_add_f64_e64 v[60:61], v[28:29], -v[60:61]
	v_add_f64_e64 v[62:63], v[30:31], -v[62:63]
	v_add_f64_e64 v[64:65], v[32:33], -v[64:65]
	v_add_f64_e64 v[66:67], v[34:35], -v[66:67]
	s_mov_b32 s1, 0xbfe6a09e
	s_wait_alu 0xfffe
	s_mov_b32 s4, s0
	v_fma_f64 v[3:4], v[4:5], 2.0, -v[36:37]
	v_fma_f64 v[5:6], v[6:7], 2.0, -v[38:39]
	;; [unrolled: 1-line block ×16, first 2 shown]
	v_and_b32_e32 v35, 0xffff, v93
	s_delay_alu instid0(VALU_DEP_1) | instskip(NEXT) | instid1(VALU_DEP_1)
	v_mad_u32_u24 v35, 0x220, v35, 0
	v_add3_u32 v35, v35, v98, v88
	ds_store_b128 v0, v[3:6]
	ds_store_b128 v0, v[36:39] offset:272
	ds_store_b128 v74, v[7:10]
	ds_store_b128 v74, v[40:43] offset:272
	;; [unrolled: 2-line block ×8, first 2 shown]
	global_wb scope:SCOPE_SE
	s_wait_dscnt 0x0
	s_barrier_signal -1
	s_barrier_wait -1
	global_inv scope:SCOPE_SE
	s_clause 0xe
	global_load_b128 v[2:5], v75, s[8:9] offset:272
	global_load_b128 v[6:9], v75, s[8:9] offset:288
	;; [unrolled: 1-line block ×15, first 2 shown]
	ds_load_b128 v[62:65], v71 offset:544
	ds_load_b128 v[74:77], v71 offset:1088
	;; [unrolled: 1-line block ×15, first 2 shown]
	s_mov_b32 s8, 0xcf328d46
	s_mov_b32 s9, 0xbfed906b
	s_wait_alu 0xfffe
	s_mov_b32 s14, s8
	s_wait_loadcnt_dscnt 0xe0e
	v_mul_f64_e32 v[66:67], v[64:65], v[4:5]
	v_mul_f64_e32 v[4:5], v[62:63], v[4:5]
	s_wait_loadcnt_dscnt 0xd0d
	v_mul_f64_e32 v[86:87], v[76:77], v[8:9]
	v_mul_f64_e32 v[8:9], v[74:75], v[8:9]
	;; [unrolled: 3-line block ×9, first 2 shown]
	s_wait_loadcnt 0x5
	v_mul_f64_e32 v[146:147], v[110:111], v[40:41]
	v_mul_f64_e32 v[40:41], v[108:109], v[40:41]
	s_wait_loadcnt_dscnt 0x401
	v_mul_f64_e32 v[148:149], v[126:127], v[44:45]
	v_mul_f64_e32 v[44:45], v[124:125], v[44:45]
	s_wait_loadcnt 0x3
	v_mul_f64_e32 v[150:151], v[106:107], v[48:49]
	v_mul_f64_e32 v[48:49], v[104:105], v[48:49]
	s_wait_loadcnt 0x2
	;; [unrolled: 3-line block ×3, first 2 shown]
	v_mul_f64_e32 v[154:155], v[114:115], v[56:57]
	v_mul_f64_e32 v[56:57], v[112:113], v[56:57]
	s_wait_loadcnt_dscnt 0x0
	v_mul_f64_e32 v[156:157], v[128:129], v[60:61]
	v_mul_f64_e32 v[60:61], v[130:131], v[60:61]
	v_fma_f64 v[62:63], v[62:63], v[2:3], v[66:67]
	v_fma_f64 v[64:65], v[64:65], v[2:3], -v[4:5]
	v_fma_f64 v[66:67], v[74:75], v[6:7], v[86:87]
	v_fma_f64 v[6:7], v[76:77], v[6:7], -v[8:9]
	;; [unrolled: 2-line block ×14, first 2 shown]
	v_fma_f64 v[56:57], v[130:131], v[58:59], -v[156:157]
	v_fma_f64 v[58:59], v[128:129], v[58:59], v[60:61]
	ds_load_b128 v[2:5], v255
	global_wb scope:SCOPE_SE
	s_wait_dscnt 0x0
	s_barrier_signal -1
	s_barrier_wait -1
	global_inv scope:SCOPE_SE
	v_add_f64_e64 v[28:29], v[2:3], -v[28:29]
	v_add_f64_e64 v[30:31], v[4:5], -v[30:31]
	;; [unrolled: 1-line block ×16, first 2 shown]
	v_fma_f64 v[2:3], v[2:3], 2.0, -v[28:29]
	v_fma_f64 v[4:5], v[4:5], 2.0, -v[30:31]
	v_add_f64_e64 v[74:75], v[30:31], -v[32:33]
	v_add_f64_e32 v[60:61], v[28:29], v[34:35]
	v_fma_f64 v[12:13], v[12:13], 2.0, -v[32:33]
	v_fma_f64 v[14:15], v[14:15], 2.0, -v[34:35]
	v_add_f64_e64 v[78:79], v[38:39], -v[40:41]
	v_add_f64_e32 v[76:77], v[36:37], v[42:43]
	;; [unrolled: 4-line block ×3, first 2 shown]
	v_fma_f64 v[20:21], v[20:21], 2.0, -v[40:41]
	v_fma_f64 v[22:23], v[22:23], 2.0, -v[42:43]
	v_add_f64_e32 v[84:85], v[52:53], v[56:57]
	v_add_f64_e64 v[86:87], v[54:55], -v[58:59]
	v_fma_f64 v[34:35], v[62:63], 2.0, -v[44:45]
	v_fma_f64 v[40:41], v[64:65], 2.0, -v[46:47]
	;; [unrolled: 1-line block ×10, first 2 shown]
	v_add_f64_e64 v[12:13], v[2:3], -v[12:13]
	v_add_f64_e64 v[14:15], v[4:5], -v[14:15]
	v_fma_f64 v[38:39], v[38:39], 2.0, -v[78:79]
	v_fma_f64 v[36:37], v[36:37], 2.0, -v[76:77]
	v_fma_f64 v[50:51], v[76:77], s[4:5], v[60:61]
	v_fma_f64 v[42:43], v[44:45], 2.0, -v[80:81]
	v_fma_f64 v[44:45], v[46:47], 2.0, -v[82:83]
	v_add_f64_e64 v[20:21], v[32:33], -v[20:21]
	v_fma_f64 v[46:47], v[52:53], 2.0, -v[84:85]
	v_fma_f64 v[48:49], v[54:55], 2.0, -v[86:87]
	v_add_f64_e64 v[22:23], v[6:7], -v[22:23]
	v_fma_f64 v[52:53], v[78:79], s[4:5], v[74:75]
	v_add_f64_e64 v[16:17], v[34:35], -v[16:17]
	v_add_f64_e64 v[18:19], v[40:41], -v[18:19]
	v_fma_f64 v[54:55], v[84:85], s[4:5], v[80:81]
	v_fma_f64 v[56:57], v[86:87], s[4:5], v[82:83]
	v_add_f64_e64 v[26:27], v[10:11], -v[26:27]
	v_add_f64_e64 v[24:25], v[8:9], -v[24:25]
	v_fma_f64 v[2:3], v[2:3], 2.0, -v[12:13]
	v_fma_f64 v[4:5], v[4:5], 2.0, -v[14:15]
	v_fma_f64 v[62:63], v[38:39], s[0:1], v[30:31]
	v_fma_f64 v[58:59], v[36:37], s[0:1], v[28:29]
	;; [unrolled: 1-line block ×3, first 2 shown]
	v_fma_f64 v[32:33], v[32:33], 2.0, -v[20:21]
	v_fma_f64 v[64:65], v[46:47], s[0:1], v[42:43]
	v_fma_f64 v[66:67], v[48:49], s[0:1], v[44:45]
	v_fma_f64 v[6:7], v[6:7], 2.0, -v[22:23]
	v_add_f64_e32 v[88:89], v[12:13], v[22:23]
	v_add_f64_e64 v[90:91], v[14:15], -v[20:21]
	v_fma_f64 v[52:53], v[76:77], s[0:1], v[52:53]
	v_fma_f64 v[54:55], v[86:87], s[4:5], v[54:55]
	;; [unrolled: 1-line block ×3, first 2 shown]
	v_add_f64_e32 v[20:21], v[16:17], v[26:27]
	v_add_f64_e64 v[22:23], v[18:19], -v[24:25]
	v_fma_f64 v[34:35], v[34:35], 2.0, -v[16:17]
	v_fma_f64 v[40:41], v[40:41], 2.0, -v[18:19]
	v_fma_f64 v[8:9], v[8:9], 2.0, -v[24:25]
	v_fma_f64 v[10:11], v[10:11], 2.0, -v[26:27]
	v_fma_f64 v[62:63], v[36:37], s[0:1], v[62:63]
	v_fma_f64 v[58:59], v[38:39], s[4:5], v[58:59]
	v_fma_f64 v[60:61], v[60:61], 2.0, -v[50:51]
	v_fma_f64 v[24:25], v[48:49], s[4:5], v[64:65]
	v_fma_f64 v[26:27], v[46:47], s[0:1], v[66:67]
	v_add_f64_e64 v[46:47], v[2:3], -v[32:33]
	v_fma_f64 v[64:65], v[12:13], 2.0, -v[88:89]
	v_fma_f64 v[66:67], v[14:15], 2.0, -v[90:91]
	v_fma_f64 v[74:75], v[74:75], 2.0, -v[52:53]
	v_fma_f64 v[32:33], v[80:81], 2.0, -v[54:55]
	v_add_f64_e64 v[48:49], v[4:5], -v[6:7]
	v_fma_f64 v[16:17], v[16:17], 2.0, -v[20:21]
	v_fma_f64 v[14:15], v[18:19], 2.0, -v[22:23]
	;; [unrolled: 1-line block ×3, first 2 shown]
	v_fma_f64 v[6:7], v[20:21], s[4:5], v[88:89]
	v_add_f64_e64 v[12:13], v[34:35], -v[8:9]
	v_add_f64_e64 v[10:11], v[40:41], -v[10:11]
	v_fma_f64 v[8:9], v[22:23], s[4:5], v[90:91]
	s_wait_alu 0xfffe
	v_fma_f64 v[38:39], v[56:57], s[14:15], v[52:53]
	v_fma_f64 v[78:79], v[30:31], 2.0, -v[62:63]
	v_fma_f64 v[76:77], v[28:29], 2.0, -v[58:59]
	v_fma_f64 v[28:29], v[54:55], s[14:15], v[50:51]
	v_fma_f64 v[36:37], v[42:43], 2.0, -v[24:25]
	v_fma_f64 v[30:31], v[44:45], 2.0, -v[26:27]
	v_fma_f64 v[92:93], v[24:25], s[10:11], v[58:59]
	v_fma_f64 v[94:95], v[26:27], s[10:11], v[62:63]
	v_fma_f64 v[80:81], v[2:3], 2.0, -v[46:47]
	v_fma_f64 v[84:85], v[32:33], s[12:13], v[60:61]
	v_fma_f64 v[82:83], v[4:5], 2.0, -v[48:49]
	v_fma_f64 v[42:43], v[16:17], s[0:1], v[64:65]
	v_fma_f64 v[44:45], v[14:15], s[0:1], v[66:67]
	;; [unrolled: 1-line block ×4, first 2 shown]
	v_fma_f64 v[34:35], v[34:35], 2.0, -v[12:13]
	v_fma_f64 v[40:41], v[40:41], 2.0, -v[10:11]
	v_fma_f64 v[4:5], v[20:21], s[0:1], v[8:9]
	v_fma_f64 v[8:9], v[54:55], s[12:13], v[38:39]
	v_add_f64_e32 v[10:11], v[46:47], v[10:11]
	v_add_f64_e64 v[12:13], v[48:49], -v[12:13]
	v_fma_f64 v[6:7], v[56:57], s[10:11], v[28:29]
	v_fma_f64 v[96:97], v[36:37], s[8:9], v[76:77]
	;; [unrolled: 1-line block ×9, first 2 shown]
	v_add_f64_e64 v[26:27], v[80:81], -v[34:35]
	v_add_f64_e64 v[28:29], v[82:83], -v[40:41]
	v_fma_f64 v[34:35], v[88:89], 2.0, -v[2:3]
	v_fma_f64 v[40:41], v[52:53], 2.0, -v[8:9]
	;; [unrolled: 1-line block ×5, first 2 shown]
	v_fma_f64 v[30:31], v[30:31], s[10:11], v[96:97]
	v_fma_f64 v[32:33], v[36:37], s[12:13], v[98:99]
	v_fma_f64 v[36:37], v[90:91], 2.0, -v[4:5]
	v_fma_f64 v[54:55], v[58:59], 2.0, -v[22:23]
	;; [unrolled: 1-line block ×11, first 2 shown]
	ds_store_b128 v71, v[2:5] offset:7616
	ds_store_b128 v71, v[6:9] offset:8160
	;; [unrolled: 1-line block ×14, first 2 shown]
	ds_store_b128 v71, v[58:61]
	ds_store_b128 v71, v[62:65] offset:544
	global_wb scope:SCOPE_SE
	s_wait_dscnt 0x0
	s_barrier_signal -1
	s_barrier_wait -1
	global_inv scope:SCOPE_SE
	s_and_saveexec_b32 s0, vcc_lo
	s_cbranch_execz .LBB0_22
; %bb.21:
	v_mul_lo_u32 v0, s3, v72
	v_mul_lo_u32 v4, s2, v73
	v_mad_co_u64_u32 v[2:3], null, s2, v72, 0
	v_lshl_add_u32 v36, v70, 4, v158
	v_mov_b32_e32 v71, v1
	v_lshlrev_b64_e32 v[10:11], 4, v[68:69]
	s_delay_alu instid0(VALU_DEP_4) | instskip(SKIP_1) | instid1(VALU_DEP_4)
	v_add3_u32 v3, v3, v4, v0
	v_add_nc_u32_e32 v0, 34, v70
	v_lshlrev_b64_e32 v[14:15], 4, v[70:71]
	s_delay_alu instid0(VALU_DEP_3)
	v_lshlrev_b64_e32 v[12:13], 4, v[2:3]
	ds_load_b128 v[2:5], v36
	ds_load_b128 v[6:9], v36 offset:544
	v_add_co_u32 v16, vcc_lo, s6, v12
	s_wait_alu 0xfffd
	v_add_co_ci_u32_e32 v17, vcc_lo, s7, v13, vcc_lo
	v_lshlrev_b64_e32 v[12:13], 4, v[0:1]
	s_delay_alu instid0(VALU_DEP_3) | instskip(SKIP_1) | instid1(VALU_DEP_3)
	v_add_co_u32 v37, vcc_lo, v16, v10
	s_wait_alu 0xfffd
	v_add_co_ci_u32_e32 v38, vcc_lo, v17, v11, vcc_lo
	v_add_nc_u32_e32 v0, 0x44, v70
	s_delay_alu instid0(VALU_DEP_3) | instskip(SKIP_1) | instid1(VALU_DEP_3)
	v_add_co_u32 v10, vcc_lo, v37, v14
	s_wait_alu 0xfffd
	v_add_co_ci_u32_e32 v11, vcc_lo, v38, v15, vcc_lo
	s_delay_alu instid0(VALU_DEP_3) | instskip(SKIP_4) | instid1(VALU_DEP_4)
	v_lshlrev_b64_e32 v[14:15], 4, v[0:1]
	v_add_co_u32 v12, vcc_lo, v37, v12
	s_wait_alu 0xfffd
	v_add_co_ci_u32_e32 v13, vcc_lo, v38, v13, vcc_lo
	v_add_nc_u32_e32 v0, 0x66, v70
	v_add_co_u32 v20, vcc_lo, v37, v14
	s_wait_dscnt 0x1
	global_store_b128 v[10:11], v[2:5], off
	s_wait_dscnt 0x0
	global_store_b128 v[12:13], v[6:9], off
	s_wait_alu 0xfffd
	v_add_co_ci_u32_e32 v21, vcc_lo, v38, v15, vcc_lo
	v_lshlrev_b64_e32 v[18:19], 4, v[0:1]
	v_add_nc_u32_e32 v0, 0x88, v70
	ds_load_b128 v[2:5], v36 offset:1088
	ds_load_b128 v[6:9], v36 offset:1632
	;; [unrolled: 1-line block ×4, first 2 shown]
	v_lshlrev_b64_e32 v[22:23], 4, v[0:1]
	v_add_nc_u32_e32 v0, 0xaa, v70
	v_add_co_u32 v18, vcc_lo, v37, v18
	s_wait_alu 0xfffd
	v_add_co_ci_u32_e32 v19, vcc_lo, v38, v19, vcc_lo
	s_delay_alu instid0(VALU_DEP_3) | instskip(SKIP_4) | instid1(VALU_DEP_4)
	v_lshlrev_b64_e32 v[24:25], 4, v[0:1]
	v_add_nc_u32_e32 v0, 0xcc, v70
	v_add_co_u32 v22, vcc_lo, v37, v22
	s_wait_alu 0xfffd
	v_add_co_ci_u32_e32 v23, vcc_lo, v38, v23, vcc_lo
	v_add_co_u32 v24, vcc_lo, v37, v24
	v_lshlrev_b64_e32 v[26:27], 4, v[0:1]
	v_add_nc_u32_e32 v0, 0xee, v70
	s_wait_alu 0xfffd
	v_add_co_ci_u32_e32 v25, vcc_lo, v38, v25, vcc_lo
	s_wait_dscnt 0x3
	global_store_b128 v[20:21], v[2:5], off
	s_wait_dscnt 0x2
	global_store_b128 v[18:19], v[6:9], off
	;; [unrolled: 2-line block ×4, first 2 shown]
	ds_load_b128 v[2:5], v36 offset:3264
	ds_load_b128 v[6:9], v36 offset:3808
	v_lshlrev_b64_e32 v[18:19], 4, v[0:1]
	v_add_nc_u32_e32 v0, 0x110, v70
	ds_load_b128 v[10:13], v36 offset:4352
	ds_load_b128 v[14:17], v36 offset:4896
	v_add_co_u32 v20, vcc_lo, v37, v26
	s_wait_alu 0xfffd
	v_add_co_ci_u32_e32 v21, vcc_lo, v38, v27, vcc_lo
	v_lshlrev_b64_e32 v[22:23], 4, v[0:1]
	v_add_nc_u32_e32 v0, 0x132, v70
	v_add_co_u32 v18, vcc_lo, v37, v18
	s_wait_alu 0xfffd
	v_add_co_ci_u32_e32 v19, vcc_lo, v38, v19, vcc_lo
	s_delay_alu instid0(VALU_DEP_3) | instskip(SKIP_4) | instid1(VALU_DEP_3)
	v_lshlrev_b64_e32 v[24:25], 4, v[0:1]
	v_add_nc_u32_e32 v0, 0x154, v70
	v_add_co_u32 v22, vcc_lo, v37, v22
	s_wait_alu 0xfffd
	v_add_co_ci_u32_e32 v23, vcc_lo, v38, v23, vcc_lo
	v_lshlrev_b64_e32 v[26:27], 4, v[0:1]
	v_add_nc_u32_e32 v0, 0x176, v70
	v_add_co_u32 v24, vcc_lo, v37, v24
	s_wait_alu 0xfffd
	v_add_co_ci_u32_e32 v25, vcc_lo, v38, v25, vcc_lo
	s_wait_dscnt 0x3
	global_store_b128 v[20:21], v[2:5], off
	s_wait_dscnt 0x2
	global_store_b128 v[18:19], v[6:9], off
	;; [unrolled: 2-line block ×4, first 2 shown]
	v_lshlrev_b64_e32 v[10:11], 4, v[0:1]
	v_add_nc_u32_e32 v0, 0x198, v70
	v_add_co_u32 v26, vcc_lo, v37, v26
	s_wait_alu 0xfffd
	v_add_co_ci_u32_e32 v27, vcc_lo, v38, v27, vcc_lo
	s_delay_alu instid0(VALU_DEP_3) | instskip(SKIP_4) | instid1(VALU_DEP_4)
	v_lshlrev_b64_e32 v[12:13], 4, v[0:1]
	v_add_co_u32 v28, vcc_lo, v37, v10
	v_add_nc_u32_e32 v0, 0x1ba, v70
	s_wait_alu 0xfffd
	v_add_co_ci_u32_e32 v29, vcc_lo, v38, v11, vcc_lo
	v_add_co_u32 v32, vcc_lo, v37, v12
	ds_load_b128 v[2:5], v36 offset:5440
	ds_load_b128 v[6:9], v36 offset:5984
	s_wait_alu 0xfffd
	v_add_co_ci_u32_e32 v33, vcc_lo, v38, v13, vcc_lo
	ds_load_b128 v[10:13], v36 offset:6528
	ds_load_b128 v[14:17], v36 offset:7072
	;; [unrolled: 1-line block ×4, first 2 shown]
	v_lshlrev_b64_e32 v[30:31], 4, v[0:1]
	v_add_nc_u32_e32 v0, 0x1dc, v70
	s_delay_alu instid0(VALU_DEP_1) | instskip(SKIP_1) | instid1(VALU_DEP_4)
	v_lshlrev_b64_e32 v[34:35], 4, v[0:1]
	v_add_nc_u32_e32 v0, 0x1fe, v70
	v_add_co_u32 v30, vcc_lo, v37, v30
	s_wait_alu 0xfffd
	v_add_co_ci_u32_e32 v31, vcc_lo, v38, v31, vcc_lo
	s_delay_alu instid0(VALU_DEP_3) | instskip(SKIP_3) | instid1(VALU_DEP_3)
	v_lshlrev_b64_e32 v[0:1], 4, v[0:1]
	v_add_co_u32 v34, vcc_lo, v37, v34
	s_wait_alu 0xfffd
	v_add_co_ci_u32_e32 v35, vcc_lo, v38, v35, vcc_lo
	v_add_co_u32 v0, vcc_lo, v37, v0
	s_wait_alu 0xfffd
	v_add_co_ci_u32_e32 v1, vcc_lo, v38, v1, vcc_lo
	s_wait_dscnt 0x5
	global_store_b128 v[26:27], v[2:5], off
	s_wait_dscnt 0x4
	global_store_b128 v[28:29], v[6:9], off
	;; [unrolled: 2-line block ×6, first 2 shown]
.LBB0_22:
	s_nop 0
	s_sendmsg sendmsg(MSG_DEALLOC_VGPRS)
	s_endpgm
	.section	.rodata,"a",@progbits
	.p2align	6, 0x0
	.amdhsa_kernel fft_rtc_back_len544_factors_17_2_16_wgs_102_tpt_34_halfLds_dp_op_CI_CI_unitstride_sbrr_C2R_dirReg
		.amdhsa_group_segment_fixed_size 0
		.amdhsa_private_segment_fixed_size 100
		.amdhsa_kernarg_size 104
		.amdhsa_user_sgpr_count 2
		.amdhsa_user_sgpr_dispatch_ptr 0
		.amdhsa_user_sgpr_queue_ptr 0
		.amdhsa_user_sgpr_kernarg_segment_ptr 1
		.amdhsa_user_sgpr_dispatch_id 0
		.amdhsa_user_sgpr_private_segment_size 0
		.amdhsa_wavefront_size32 1
		.amdhsa_uses_dynamic_stack 0
		.amdhsa_enable_private_segment 1
		.amdhsa_system_sgpr_workgroup_id_x 1
		.amdhsa_system_sgpr_workgroup_id_y 0
		.amdhsa_system_sgpr_workgroup_id_z 0
		.amdhsa_system_sgpr_workgroup_info 0
		.amdhsa_system_vgpr_workitem_id 0
		.amdhsa_next_free_vgpr 256
		.amdhsa_next_free_sgpr 52
		.amdhsa_reserve_vcc 1
		.amdhsa_float_round_mode_32 0
		.amdhsa_float_round_mode_16_64 0
		.amdhsa_float_denorm_mode_32 3
		.amdhsa_float_denorm_mode_16_64 3
		.amdhsa_fp16_overflow 0
		.amdhsa_workgroup_processor_mode 1
		.amdhsa_memory_ordered 1
		.amdhsa_forward_progress 0
		.amdhsa_round_robin_scheduling 0
		.amdhsa_exception_fp_ieee_invalid_op 0
		.amdhsa_exception_fp_denorm_src 0
		.amdhsa_exception_fp_ieee_div_zero 0
		.amdhsa_exception_fp_ieee_overflow 0
		.amdhsa_exception_fp_ieee_underflow 0
		.amdhsa_exception_fp_ieee_inexact 0
		.amdhsa_exception_int_div_zero 0
	.end_amdhsa_kernel
	.text
.Lfunc_end0:
	.size	fft_rtc_back_len544_factors_17_2_16_wgs_102_tpt_34_halfLds_dp_op_CI_CI_unitstride_sbrr_C2R_dirReg, .Lfunc_end0-fft_rtc_back_len544_factors_17_2_16_wgs_102_tpt_34_halfLds_dp_op_CI_CI_unitstride_sbrr_C2R_dirReg
                                        ; -- End function
	.section	.AMDGPU.csdata,"",@progbits
; Kernel info:
; codeLenInByte = 13796
; NumSgprs: 54
; NumVgprs: 256
; ScratchSize: 100
; MemoryBound: 0
; FloatMode: 240
; IeeeMode: 1
; LDSByteSize: 0 bytes/workgroup (compile time only)
; SGPRBlocks: 6
; VGPRBlocks: 31
; NumSGPRsForWavesPerEU: 54
; NumVGPRsForWavesPerEU: 256
; Occupancy: 5
; WaveLimiterHint : 1
; COMPUTE_PGM_RSRC2:SCRATCH_EN: 1
; COMPUTE_PGM_RSRC2:USER_SGPR: 2
; COMPUTE_PGM_RSRC2:TRAP_HANDLER: 0
; COMPUTE_PGM_RSRC2:TGID_X_EN: 1
; COMPUTE_PGM_RSRC2:TGID_Y_EN: 0
; COMPUTE_PGM_RSRC2:TGID_Z_EN: 0
; COMPUTE_PGM_RSRC2:TIDIG_COMP_CNT: 0
	.text
	.p2alignl 7, 3214868480
	.fill 96, 4, 3214868480
	.type	__hip_cuid_2d220aa014af5734,@object ; @__hip_cuid_2d220aa014af5734
	.section	.bss,"aw",@nobits
	.globl	__hip_cuid_2d220aa014af5734
__hip_cuid_2d220aa014af5734:
	.byte	0                               ; 0x0
	.size	__hip_cuid_2d220aa014af5734, 1

	.ident	"AMD clang version 19.0.0git (https://github.com/RadeonOpenCompute/llvm-project roc-6.4.0 25133 c7fe45cf4b819c5991fe208aaa96edf142730f1d)"
	.section	".note.GNU-stack","",@progbits
	.addrsig
	.addrsig_sym __hip_cuid_2d220aa014af5734
	.amdgpu_metadata
---
amdhsa.kernels:
  - .args:
      - .actual_access:  read_only
        .address_space:  global
        .offset:         0
        .size:           8
        .value_kind:     global_buffer
      - .offset:         8
        .size:           8
        .value_kind:     by_value
      - .actual_access:  read_only
        .address_space:  global
        .offset:         16
        .size:           8
        .value_kind:     global_buffer
      - .actual_access:  read_only
        .address_space:  global
        .offset:         24
        .size:           8
        .value_kind:     global_buffer
      - .actual_access:  read_only
        .address_space:  global
        .offset:         32
        .size:           8
        .value_kind:     global_buffer
      - .offset:         40
        .size:           8
        .value_kind:     by_value
      - .actual_access:  read_only
        .address_space:  global
        .offset:         48
        .size:           8
        .value_kind:     global_buffer
      - .actual_access:  read_only
        .address_space:  global
        .offset:         56
        .size:           8
        .value_kind:     global_buffer
      - .offset:         64
        .size:           4
        .value_kind:     by_value
      - .actual_access:  read_only
        .address_space:  global
        .offset:         72
        .size:           8
        .value_kind:     global_buffer
      - .actual_access:  read_only
        .address_space:  global
        .offset:         80
        .size:           8
        .value_kind:     global_buffer
      - .actual_access:  read_only
        .address_space:  global
        .offset:         88
        .size:           8
        .value_kind:     global_buffer
      - .actual_access:  write_only
        .address_space:  global
        .offset:         96
        .size:           8
        .value_kind:     global_buffer
    .group_segment_fixed_size: 0
    .kernarg_segment_align: 8
    .kernarg_segment_size: 104
    .language:       OpenCL C
    .language_version:
      - 2
      - 0
    .max_flat_workgroup_size: 102
    .name:           fft_rtc_back_len544_factors_17_2_16_wgs_102_tpt_34_halfLds_dp_op_CI_CI_unitstride_sbrr_C2R_dirReg
    .private_segment_fixed_size: 100
    .sgpr_count:     54
    .sgpr_spill_count: 0
    .symbol:         fft_rtc_back_len544_factors_17_2_16_wgs_102_tpt_34_halfLds_dp_op_CI_CI_unitstride_sbrr_C2R_dirReg.kd
    .uniform_work_group_size: 1
    .uses_dynamic_stack: false
    .vgpr_count:     256
    .vgpr_spill_count: 24
    .wavefront_size: 32
    .workgroup_processor_mode: 1
amdhsa.target:   amdgcn-amd-amdhsa--gfx1201
amdhsa.version:
  - 1
  - 2
...

	.end_amdgpu_metadata
